;; amdgpu-corpus repo=triton-lang/triton kind=triton arch=gfx1100 opt=O3 lang=triton
	.amdgcn_target "amdgcn-amd-amdhsa--gfx1100"
	.amdhsa_code_object_version 5
	.text
	.globl	matmul_kernel_persistent        ; -- Begin function matmul_kernel_persistent
	.p2align	8
	.type	matmul_kernel_persistent,@function
matmul_kernel_persistent:               ; @matmul_kernel_persistent
.Lfunc_begin0:
	.cfi_sections .debug_frame
	.cfi_startproc
; %bb.0:
	.file	1 "/root/src/amdgpu-assembly/repos/triton-lang__triton-aot" "persistent_matmul.py"
	.loc	1 47 41 prologue_end            ; persistent_matmul.py:47:41
	v_and_b32_e32 v4, 0x60, v0
	.loc	1 40 35                         ; persistent_matmul.py:40:35
	v_and_b32_e32 v30, 0x80, v0
	.loc	1 47 41                         ; persistent_matmul.py:47:41
	v_lshrrev_b32_e32 v3, 4, v0
	s_clause 0x1
	s_load_b128 s[20:23], s[0:1], 0x10
	s_load_b32 s38, s[0:1], 0x20
	scratch_store_b32 off, v4, off offset:684 ; 4-byte Folded Spill
	v_lshrrev_b32_e32 v4, 1, v4
	v_and_b32_e32 v1, 15, v0
	v_lshrrev_b32_e32 v2, 3, v30
	s_load_b64 s[18:19], s[0:1], 0x34
	s_delay_alu instid0(VALU_DEP_3) | instskip(NEXT) | instid1(VALU_DEP_2)
	v_and_or_b32 v131, v3, 1, v4
	v_or_b32_e32 v130, v2, v1
	s_delay_alu instid0(VALU_DEP_2) | instskip(SKIP_1) | instid1(VALU_DEP_3)
	v_or_b32_e32 v2, 0x46, v131
	v_or_b32_e32 v187, 2, v131
	;; [unrolled: 1-line block ×5, first 2 shown]
	scratch_store_b32 off, v2, off offset:280 ; 4-byte Folded Spill
	v_or_b32_e32 v2, 0x48, v131
.Ltmp0:
	.file	2 "/root/.local/lib/python3.13/site-packages/triton/language" "standard.py"
	.loc	2 43 17                         ; standard.py:43:17 @[ persistent_matmul.py:31:27 ]
	s_waitcnt lgkmcnt(0)
	s_add_i32 s2, s22, 0x7f
.Ltmp1:
	.loc	2 43 17 is_stmt 0               ; standard.py:43:17 @[ persistent_matmul.py:32:27 ]
	s_add_i32 s3, s23, 0x7f
.Ltmp2:
	.loc	2 43 30                         ; standard.py:43:30 @[ persistent_matmul.py:31:27 ]
	s_ashr_i32 s4, s2, 31
.Ltmp3:
	.loc	2 43 30                         ; standard.py:43:30 @[ persistent_matmul.py:32:27 ]
	s_ashr_i32 s5, s3, 31
.Ltmp4:
	.loc	1 47 41 is_stmt 1               ; persistent_matmul.py:47:41
	scratch_store_b32 off, v2, off offset:284 ; 4-byte Folded Spill
	v_or_b32_e32 v2, 0x4a, v131
.Ltmp5:
	.loc	2 43 30                         ; standard.py:43:30 @[ persistent_matmul.py:31:27 ]
	s_lshr_b32 s4, s4, 25
.Ltmp6:
	.loc	2 43 30 is_stmt 0               ; standard.py:43:30 @[ persistent_matmul.py:32:27 ]
	s_lshr_b32 s5, s5, 25
.Ltmp7:
	.loc	2 43 30                         ; standard.py:43:30 @[ persistent_matmul.py:31:27 ]
	s_add_i32 s2, s2, s4
.Ltmp8:
	.loc	2 43 30                         ; standard.py:43:30 @[ persistent_matmul.py:32:27 ]
	s_add_i32 s3, s3, s5
.Ltmp9:
	.loc	1 47 41 is_stmt 1               ; persistent_matmul.py:47:41
	scratch_store_b32 off, v2, off offset:288 ; 4-byte Folded Spill
	v_or_b32_e32 v2, 0x4c, v131
	v_or_b32_e32 v193, 4, v131
	;; [unrolled: 1-line block ×4, first 2 shown]
.Ltmp10:
	.loc	2 43 30                         ; standard.py:43:30 @[ persistent_matmul.py:31:27 ]
	s_ashr_i32 s30, s2, 7
.Ltmp11:
	.loc	2 43 30 is_stmt 0               ; standard.py:43:30 @[ persistent_matmul.py:32:27 ]
	s_ashr_i32 s2, s3, 7
.Ltmp12:
	.loc	1 47 41 is_stmt 1               ; persistent_matmul.py:47:41
	v_or_b32_e32 v216, 10, v131
	v_or_b32_e32 v217, 12, v131
	;; [unrolled: 1-line block ×6, first 2 shown]
	scratch_store_b32 off, v2, off offset:292 ; 4-byte Folded Spill
	v_or_b32_e32 v2, 0x4e, v131
	.loc	1 55 24                         ; persistent_matmul.py:55:24
	s_add_i32 s3, s38, 0x7e
	.loc	1 41 38                         ; persistent_matmul.py:41:38
	s_lshl_b32 s33, s2, 3
	.loc	1 34 28                         ; persistent_matmul.py:34:28
	s_mul_i32 s31, s2, s30
	.loc	1 55 24                         ; persistent_matmul.py:55:24
	s_cmpk_gt_u32 s3, 0x7e
	s_mov_b32 s2, -1
	scratch_store_b32 off, v2, off offset:296 ; 4-byte Folded Spill
	s_cbranch_scc0 .LBB0_482
; %bb.1:
	.loc	1 43 59                         ; persistent_matmul.py:43:59
	s_sub_i32 s2, s31, s15
.Ltmp13:
	.loc	2 43 17 is_stmt 0               ; standard.py:43:17 @[ persistent_matmul.py:33:25 ]
	s_add_i32 s3, s38, 63
.Ltmp14:
	.loc	1 43 59                         ; persistent_matmul.py:43:59
	s_mul_hi_i32 s4, s2, 0x6bca1af3
.Ltmp15:
	.loc	2 43 30                         ; standard.py:43:30 @[ persistent_matmul.py:33:25 ]
	s_ashr_i32 s5, s3, 31
.Ltmp16:
	.loc	1 43 59                         ; persistent_matmul.py:43:59
	s_lshr_b32 s6, s4, 31
	s_ashr_i32 s4, s4, 7
.Ltmp17:
	.loc	2 43 30                         ; standard.py:43:30 @[ persistent_matmul.py:33:25 ]
	s_lshr_b32 s5, s5, 26
.Ltmp18:
	.loc	1 43 59                         ; persistent_matmul.py:43:59
	s_add_i32 s7, s4, s6
.Ltmp19:
	.loc	2 43 30                         ; standard.py:43:30 @[ persistent_matmul.py:33:25 ]
	s_add_i32 s3, s3, s5
.Ltmp20:
	.loc	1 43 59                         ; persistent_matmul.py:43:59
	s_mulk_i32 s7, 0x130
.Ltmp21:
	.loc	2 43 30                         ; standard.py:43:30 @[ persistent_matmul.py:33:25 ]
	s_ashr_i32 s3, s3, 6
.Ltmp22:
	.loc	1 43 59                         ; persistent_matmul.py:43:59
	s_cmp_lg_u32 s2, s7
	s_clause 0x1
	s_load_b64 s[24:25], s[0:1], 0x24
	s_load_b64 s[26:27], s[0:1], 0x0
	s_cselect_b32 s5, -1, 0
	s_cmp_gt_i32 s2, -1
	.loc	1 47 41 is_stmt 1               ; persistent_matmul.py:47:41
	v_lshrrev_b32_e32 v36, 6, v0
	.loc	1 43 59                         ; persistent_matmul.py:43:59
	s_cselect_b32 s2, -1, 0
	.loc	1 40 35                         ; persistent_matmul.py:40:35
	v_and_b32_e32 v3, 63, v0
	.loc	1 43 59                         ; persistent_matmul.py:43:59
	s_and_b32 s2, s2, s5
	s_addc_u32 s2, s4, s6
	s_max_i32 s39, s3, 1
	s_delay_alu instid0(SALU_CYCLE_1)
	s_mul_i32 s2, s2, s39
	scratch_store_b32 off, v3, off offset:300 ; 4-byte Folded Spill
	s_cmp_gt_i32 s2, 0
	s_cselect_b32 s35, -1, 0
.Ltmp23:
	.loc	1 10 26                         ; persistent_matmul.py:10:26 @[ persistent_matmul.py:44:88 ]
	s_abs_i32 s34, s33
	s_abs_i32 s5, s15
	v_cvt_f32_u32_e32 v2, s34
	s_sub_i32 s3, 0, s34
	s_ashr_i32 s6, s15, 31
	s_ashr_i32 s36, s33, 31
.Ltmp24:
	.loc	1 57 79                         ; persistent_matmul.py:57:79
	s_waitcnt lgkmcnt(0)
	v_mul_lo_u32 v35, s25, v3
.Ltmp25:
	.loc	1 10 26                         ; persistent_matmul.py:10:26 @[ persistent_matmul.py:44:88 ]
	v_rcp_iflag_f32_e32 v2, v2
	s_xor_b32 s7, s6, s36
	s_waitcnt_depctr depctr_va_vdst(0)
	v_mul_f32_e32 v2, 0x4f7ffffe, v2
	s_delay_alu instid0(VALU_DEP_1) | instskip(NEXT) | instid1(VALU_DEP_1)
	v_cvt_u32_f32_e32 v2, v2
	v_readfirstlane_b32 s37, v2
	s_mul_i32 s3, s3, s37
	s_delay_alu instid0(SALU_CYCLE_1) | instskip(NEXT) | instid1(SALU_CYCLE_1)
	s_mul_hi_u32 s3, s37, s3
	s_add_i32 s37, s37, s3
	s_delay_alu instid0(SALU_CYCLE_1) | instskip(NEXT) | instid1(SALU_CYCLE_1)
	s_mul_hi_u32 s3, s5, s37
	s_mul_i32 s4, s3, s34
	s_add_i32 s8, s3, 1
	s_sub_i32 s4, s5, s4
	s_delay_alu instid0(SALU_CYCLE_1)
	s_sub_i32 s9, s4, s34
	s_cmp_ge_u32 s4, s34
	s_cselect_b32 s3, s8, s3
	s_cselect_b32 s4, s9, s4
	s_add_i32 s8, s3, 1
	s_cmp_ge_u32 s4, s34
	s_cselect_b32 s3, s8, s3
	s_delay_alu instid0(SALU_CYCLE_1) | instskip(NEXT) | instid1(SALU_CYCLE_1)
	s_xor_b32 s3, s3, s7
	s_sub_i32 s8, s3, s7
	s_delay_alu instid0(SALU_CYCLE_1) | instskip(NEXT) | instid1(SALU_CYCLE_1)
	.loc	1 11 29                         ; persistent_matmul.py:11:29 @[ persistent_matmul.py:44:88 ]
	s_lshl_b32 s9, s8, 3
	.loc	1 12 35                         ; persistent_matmul.py:12:35 @[ persistent_matmul.py:44:88 ]
	s_sub_i32 s3, s30, s9
	s_delay_alu instid0(SALU_CYCLE_1) | instskip(NEXT) | instid1(SALU_CYCLE_1)
	.loc	1 12 48 is_stmt 0               ; persistent_matmul.py:12:48 @[ persistent_matmul.py:44:88 ]
	s_min_i32 s4, s3, 8
	.loc	1 13 37 is_stmt 1               ; persistent_matmul.py:13:37 @[ persistent_matmul.py:44:88 ]
	s_abs_i32 s3, s4
	s_delay_alu instid0(SALU_CYCLE_1) | instskip(SKIP_1) | instid1(VALU_DEP_1)
	v_cvt_f32_u32_e32 v2, s3
	s_sub_i32 s10, 0, s3
	v_rcp_iflag_f32_e32 v2, v2
	s_waitcnt_depctr depctr_va_vdst(0)
	v_mul_f32_e32 v2, 0x4f7ffffe, v2
	s_delay_alu instid0(VALU_DEP_1) | instskip(NEXT) | instid1(VALU_DEP_1)
	v_cvt_u32_f32_e32 v2, v2
	v_readfirstlane_b32 s7, v2
	s_mul_i32 s10, s10, s7
	s_delay_alu instid0(SALU_CYCLE_1) | instskip(NEXT) | instid1(SALU_CYCLE_1)
	s_mul_hi_u32 s10, s7, s10
	s_add_i32 s7, s7, s10
	s_delay_alu instid0(SALU_CYCLE_1) | instskip(NEXT) | instid1(SALU_CYCLE_1)
	s_mul_hi_u32 s10, s5, s7
	s_mul_i32 s10, s10, s3
	s_delay_alu instid0(SALU_CYCLE_1) | instskip(NEXT) | instid1(SALU_CYCLE_1)
	s_sub_i32 s5, s5, s10
	s_sub_i32 s10, s5, s3
	s_cmp_ge_u32 s5, s3
	s_cselect_b32 s5, s10, s5
	s_delay_alu instid0(SALU_CYCLE_1) | instskip(SKIP_2) | instid1(SALU_CYCLE_1)
	s_sub_i32 s10, s5, s3
	s_cmp_ge_u32 s5, s3
	s_cselect_b32 s5, s10, s5
	s_xor_b32 s5, s5, s6
	s_delay_alu instid0(SALU_CYCLE_1) | instskip(NEXT) | instid1(SALU_CYCLE_1)
	s_sub_i32 s5, s5, s6
	.loc	1 13 27 is_stmt 0               ; persistent_matmul.py:13:27 @[ persistent_matmul.py:44:88 ]
	s_add_i32 s9, s9, s5
	s_delay_alu instid0(SALU_CYCLE_1) | instskip(NEXT) | instid1(SALU_CYCLE_1)
.Ltmp26:
	.loc	1 45 26 is_stmt 1               ; persistent_matmul.py:45:26
	s_lshl_b32 s5, s9, 7
	.loc	1 47 28                         ; persistent_matmul.py:47:28
	v_or_b32_e32 v2, s5, v36
	s_delay_alu instid0(VALU_DEP_1) | instskip(SKIP_3) | instid1(VALU_DEP_3)
	.loc	1 49 37                         ; persistent_matmul.py:49:37
	v_cmp_gt_i32_e32 vcc_lo, s22, v2
	.loc	1 49 49 is_stmt 0               ; persistent_matmul.py:49:49
	v_cndmask_b32_e32 v2, 0, v2, vcc_lo
	.loc	1 60 64 is_stmt 1               ; persistent_matmul.py:60:64
	v_cmp_gt_i32_e32 vcc_lo, s38, v3
	v_mov_b32_e32 v3, 0
	.loc	1 57 49                         ; persistent_matmul.py:57:49
	v_mul_lo_u32 v2, v2, s24
	.loc	1 43 59                         ; persistent_matmul.py:43:59
	s_and_b32 s6, vcc_lo, s35
	.loc	1 57 79                         ; persistent_matmul.py:57:79
	scratch_store_b32 off, v2, off offset:364 ; 4-byte Folded Spill
	v_mov_b32_e32 v2, 0
	.loc	1 60 24                         ; persistent_matmul.py:60:24
	s_and_saveexec_b32 s9, s6
	s_cbranch_execz .LBB0_3
; %bb.2:
	.loc	1 0 24 is_stmt 0                ; persistent_matmul.py:0:24
	scratch_load_b32 v3, off, off offset:364 ; 4-byte Folded Reload
	s_waitcnt vmcnt(0)
	v_add_nc_u32_e32 v3, v3, v35
	s_delay_alu instid0(VALU_DEP_1) | instskip(NEXT) | instid1(VALU_DEP_1)
	v_ashrrev_i32_e32 v4, 31, v3
	v_lshlrev_b64 v[3:4], 1, v[3:4]
	s_delay_alu instid0(VALU_DEP_1) | instskip(NEXT) | instid1(VALU_DEP_1)
	v_add_co_u32 v3, vcc_lo, s26, v3
	v_add_co_ci_u32_e64 v4, null, s27, v4, vcc_lo
	.loc	1 60 24                         ; persistent_matmul.py:60:24
	global_load_u16 v3, v[3:4], off
.LBB0_3:
	.loc	1 0 24                          ; persistent_matmul.py:0:24
	s_or_b32 exec_lo, exec_lo, s9
	.loc	1 47 41 is_stmt 1               ; persistent_matmul.py:47:41
	v_or_b32_e32 v4, 4, v36
	scratch_store_b32 off, v4, off offset:556 ; 4-byte Folded Spill
	.loc	1 47 28 is_stmt 0               ; persistent_matmul.py:47:28
	v_or_b32_e32 v4, s5, v4
	s_delay_alu instid0(VALU_DEP_1) | instskip(SKIP_1) | instid1(VALU_DEP_1)
	.loc	1 49 37 is_stmt 1               ; persistent_matmul.py:49:37
	v_cmp_gt_i32_e32 vcc_lo, s22, v4
	.loc	1 49 49 is_stmt 0               ; persistent_matmul.py:49:49
	v_cndmask_b32_e32 v4, 0, v4, vcc_lo
	.loc	1 57 49 is_stmt 1               ; persistent_matmul.py:57:49
	v_mul_lo_u32 v4, v4, s24
	.loc	1 60 24                         ; persistent_matmul.py:60:24
	scratch_store_b32 off, v4, off offset:368 ; 4-byte Folded Spill
	s_and_saveexec_b32 s9, s6
	s_cbranch_execz .LBB0_5
; %bb.4:
	.loc	1 57 61                         ; persistent_matmul.py:57:61
	scratch_load_b32 v2, off, off offset:368 ; 4-byte Folded Reload
	s_waitcnt vmcnt(0)
	v_add_nc_u32_e32 v4, v2, v35
	s_delay_alu instid0(VALU_DEP_1) | instskip(NEXT) | instid1(VALU_DEP_1)
	.loc	1 57 30 is_stmt 0               ; persistent_matmul.py:57:30
	v_ashrrev_i32_e32 v5, 31, v4
	v_lshlrev_b64 v[4:5], 1, v[4:5]
	s_delay_alu instid0(VALU_DEP_1) | instskip(NEXT) | instid1(VALU_DEP_1)
	v_add_co_u32 v4, vcc_lo, s26, v4
	v_add_co_ci_u32_e64 v5, null, s27, v5, vcc_lo
	.loc	1 60 24 is_stmt 1               ; persistent_matmul.py:60:24
	global_load_u16 v2, v[4:5], off
.LBB0_5:
	.loc	1 0 24 is_stmt 0                ; persistent_matmul.py:0:24
	s_or_b32 exec_lo, exec_lo, s9
	.loc	1 47 41 is_stmt 1               ; persistent_matmul.py:47:41
	v_or_b32_e32 v4, 8, v36
	v_mov_b32_e32 v5, 0
	scratch_store_b32 off, v4, off offset:560 ; 4-byte Folded Spill
	.loc	1 47 28 is_stmt 0               ; persistent_matmul.py:47:28
	v_or_b32_e32 v4, s5, v4
	s_delay_alu instid0(VALU_DEP_1) | instskip(SKIP_1) | instid1(VALU_DEP_1)
	.loc	1 49 37 is_stmt 1               ; persistent_matmul.py:49:37
	v_cmp_gt_i32_e32 vcc_lo, s22, v4
	.loc	1 49 49 is_stmt 0               ; persistent_matmul.py:49:49
	v_cndmask_b32_e32 v4, 0, v4, vcc_lo
	.loc	1 57 49 is_stmt 1               ; persistent_matmul.py:57:49
	v_mul_lo_u32 v4, v4, s24
	scratch_store_b32 off, v4, off offset:372 ; 4-byte Folded Spill
	v_mov_b32_e32 v4, 0
	.loc	1 60 24                         ; persistent_matmul.py:60:24
	s_and_saveexec_b32 s9, s6
	s_cbranch_execz .LBB0_7
; %bb.6:
	.loc	1 57 61                         ; persistent_matmul.py:57:61
	scratch_load_b32 v5, off, off offset:372 ; 4-byte Folded Reload
	s_waitcnt vmcnt(0)
	v_add_nc_u32_e32 v5, v5, v35
	s_delay_alu instid0(VALU_DEP_1) | instskip(NEXT) | instid1(VALU_DEP_1)
	.loc	1 57 30 is_stmt 0               ; persistent_matmul.py:57:30
	v_ashrrev_i32_e32 v6, 31, v5
	v_lshlrev_b64 v[5:6], 1, v[5:6]
	s_delay_alu instid0(VALU_DEP_1) | instskip(NEXT) | instid1(VALU_DEP_1)
	v_add_co_u32 v5, vcc_lo, s26, v5
	v_add_co_ci_u32_e64 v6, null, s27, v6, vcc_lo
	.loc	1 60 24 is_stmt 1               ; persistent_matmul.py:60:24
	global_load_u16 v5, v[5:6], off
.LBB0_7:
	.loc	1 0 24 is_stmt 0                ; persistent_matmul.py:0:24
	s_or_b32 exec_lo, exec_lo, s9
	.loc	1 47 41 is_stmt 1               ; persistent_matmul.py:47:41
	v_or_b32_e32 v6, 12, v36
	scratch_store_b32 off, v6, off offset:564 ; 4-byte Folded Spill
	.loc	1 47 28 is_stmt 0               ; persistent_matmul.py:47:28
	v_or_b32_e32 v6, s5, v6
	s_delay_alu instid0(VALU_DEP_1) | instskip(SKIP_1) | instid1(VALU_DEP_1)
	.loc	1 49 37 is_stmt 1               ; persistent_matmul.py:49:37
	v_cmp_gt_i32_e32 vcc_lo, s22, v6
	.loc	1 49 49 is_stmt 0               ; persistent_matmul.py:49:49
	v_cndmask_b32_e32 v6, 0, v6, vcc_lo
	.loc	1 57 49 is_stmt 1               ; persistent_matmul.py:57:49
	v_mul_lo_u32 v6, v6, s24
	.loc	1 60 24                         ; persistent_matmul.py:60:24
	scratch_store_b32 off, v6, off offset:376 ; 4-byte Folded Spill
	s_and_saveexec_b32 s9, s6
	s_cbranch_execz .LBB0_9
; %bb.8:
	.loc	1 57 61                         ; persistent_matmul.py:57:61
	scratch_load_b32 v4, off, off offset:376 ; 4-byte Folded Reload
	s_waitcnt vmcnt(0)
	v_add_nc_u32_e32 v6, v4, v35
	s_delay_alu instid0(VALU_DEP_1) | instskip(NEXT) | instid1(VALU_DEP_1)
	.loc	1 57 30 is_stmt 0               ; persistent_matmul.py:57:30
	v_ashrrev_i32_e32 v7, 31, v6
	v_lshlrev_b64 v[6:7], 1, v[6:7]
	s_delay_alu instid0(VALU_DEP_1) | instskip(NEXT) | instid1(VALU_DEP_1)
	v_add_co_u32 v6, vcc_lo, s26, v6
	v_add_co_ci_u32_e64 v7, null, s27, v7, vcc_lo
	.loc	1 60 24 is_stmt 1               ; persistent_matmul.py:60:24
	global_load_u16 v4, v[6:7], off
.LBB0_9:
	.loc	1 0 24 is_stmt 0                ; persistent_matmul.py:0:24
	s_or_b32 exec_lo, exec_lo, s9
	.loc	1 47 41 is_stmt 1               ; persistent_matmul.py:47:41
	v_or_b32_e32 v6, 16, v36
	v_mov_b32_e32 v7, 0
	scratch_store_b32 off, v6, off offset:568 ; 4-byte Folded Spill
	.loc	1 47 28 is_stmt 0               ; persistent_matmul.py:47:28
	v_or_b32_e32 v6, s5, v6
	s_delay_alu instid0(VALU_DEP_1) | instskip(SKIP_1) | instid1(VALU_DEP_1)
	.loc	1 49 37 is_stmt 1               ; persistent_matmul.py:49:37
	v_cmp_gt_i32_e32 vcc_lo, s22, v6
	.loc	1 49 49 is_stmt 0               ; persistent_matmul.py:49:49
	v_cndmask_b32_e32 v6, 0, v6, vcc_lo
	.loc	1 57 49 is_stmt 1               ; persistent_matmul.py:57:49
	v_mul_lo_u32 v6, v6, s24
	scratch_store_b32 off, v6, off offset:380 ; 4-byte Folded Spill
	v_mov_b32_e32 v6, 0
	.loc	1 60 24                         ; persistent_matmul.py:60:24
	s_and_saveexec_b32 s9, s6
	s_cbranch_execz .LBB0_11
; %bb.10:
	.loc	1 57 61                         ; persistent_matmul.py:57:61
	scratch_load_b32 v7, off, off offset:380 ; 4-byte Folded Reload
	s_waitcnt vmcnt(0)
	v_add_nc_u32_e32 v7, v7, v35
	s_delay_alu instid0(VALU_DEP_1) | instskip(NEXT) | instid1(VALU_DEP_1)
	.loc	1 57 30 is_stmt 0               ; persistent_matmul.py:57:30
	v_ashrrev_i32_e32 v8, 31, v7
	v_lshlrev_b64 v[7:8], 1, v[7:8]
	s_delay_alu instid0(VALU_DEP_1) | instskip(NEXT) | instid1(VALU_DEP_1)
	v_add_co_u32 v7, vcc_lo, s26, v7
	v_add_co_ci_u32_e64 v8, null, s27, v8, vcc_lo
	.loc	1 60 24 is_stmt 1               ; persistent_matmul.py:60:24
	global_load_u16 v7, v[7:8], off
.LBB0_11:
	.loc	1 0 24 is_stmt 0                ; persistent_matmul.py:0:24
	s_or_b32 exec_lo, exec_lo, s9
	.loc	1 47 41 is_stmt 1               ; persistent_matmul.py:47:41
	v_or_b32_e32 v8, 20, v36
	scratch_store_b32 off, v8, off offset:572 ; 4-byte Folded Spill
	.loc	1 47 28 is_stmt 0               ; persistent_matmul.py:47:28
	v_or_b32_e32 v8, s5, v8
	s_delay_alu instid0(VALU_DEP_1) | instskip(SKIP_1) | instid1(VALU_DEP_1)
	.loc	1 49 37 is_stmt 1               ; persistent_matmul.py:49:37
	v_cmp_gt_i32_e32 vcc_lo, s22, v8
	.loc	1 49 49 is_stmt 0               ; persistent_matmul.py:49:49
	v_cndmask_b32_e32 v8, 0, v8, vcc_lo
	.loc	1 57 49 is_stmt 1               ; persistent_matmul.py:57:49
	v_mul_lo_u32 v8, v8, s24
	.loc	1 60 24                         ; persistent_matmul.py:60:24
	scratch_store_b32 off, v8, off offset:384 ; 4-byte Folded Spill
	s_and_saveexec_b32 s9, s6
	s_cbranch_execz .LBB0_13
; %bb.12:
	.loc	1 57 61                         ; persistent_matmul.py:57:61
	scratch_load_b32 v6, off, off offset:384 ; 4-byte Folded Reload
	s_waitcnt vmcnt(0)
	v_add_nc_u32_e32 v8, v6, v35
	s_delay_alu instid0(VALU_DEP_1) | instskip(NEXT) | instid1(VALU_DEP_1)
	.loc	1 57 30 is_stmt 0               ; persistent_matmul.py:57:30
	v_ashrrev_i32_e32 v9, 31, v8
	v_lshlrev_b64 v[8:9], 1, v[8:9]
	s_delay_alu instid0(VALU_DEP_1) | instskip(NEXT) | instid1(VALU_DEP_1)
	v_add_co_u32 v8, vcc_lo, s26, v8
	v_add_co_ci_u32_e64 v9, null, s27, v9, vcc_lo
	.loc	1 60 24 is_stmt 1               ; persistent_matmul.py:60:24
	global_load_u16 v6, v[8:9], off
.LBB0_13:
	.loc	1 0 24 is_stmt 0                ; persistent_matmul.py:0:24
	s_or_b32 exec_lo, exec_lo, s9
	.loc	1 47 41 is_stmt 1               ; persistent_matmul.py:47:41
	v_or_b32_e32 v8, 24, v36
	v_mov_b32_e32 v9, 0
	scratch_store_b32 off, v8, off offset:576 ; 4-byte Folded Spill
	.loc	1 47 28 is_stmt 0               ; persistent_matmul.py:47:28
	v_or_b32_e32 v8, s5, v8
	s_delay_alu instid0(VALU_DEP_1) | instskip(SKIP_1) | instid1(VALU_DEP_1)
	.loc	1 49 37 is_stmt 1               ; persistent_matmul.py:49:37
	v_cmp_gt_i32_e32 vcc_lo, s22, v8
	.loc	1 49 49 is_stmt 0               ; persistent_matmul.py:49:49
	v_cndmask_b32_e32 v8, 0, v8, vcc_lo
	.loc	1 57 49 is_stmt 1               ; persistent_matmul.py:57:49
	v_mul_lo_u32 v8, v8, s24
	scratch_store_b32 off, v8, off offset:388 ; 4-byte Folded Spill
	v_mov_b32_e32 v8, 0
	.loc	1 60 24                         ; persistent_matmul.py:60:24
	s_and_saveexec_b32 s9, s6
	s_cbranch_execz .LBB0_15
; %bb.14:
	.loc	1 57 61                         ; persistent_matmul.py:57:61
	scratch_load_b32 v9, off, off offset:388 ; 4-byte Folded Reload
	s_waitcnt vmcnt(0)
	v_add_nc_u32_e32 v9, v9, v35
	s_delay_alu instid0(VALU_DEP_1) | instskip(NEXT) | instid1(VALU_DEP_1)
	.loc	1 57 30 is_stmt 0               ; persistent_matmul.py:57:30
	v_ashrrev_i32_e32 v10, 31, v9
	v_lshlrev_b64 v[9:10], 1, v[9:10]
	s_delay_alu instid0(VALU_DEP_1) | instskip(NEXT) | instid1(VALU_DEP_1)
	v_add_co_u32 v9, vcc_lo, s26, v9
	v_add_co_ci_u32_e64 v10, null, s27, v10, vcc_lo
	.loc	1 60 24 is_stmt 1               ; persistent_matmul.py:60:24
	global_load_u16 v9, v[9:10], off
.LBB0_15:
	.loc	1 0 24 is_stmt 0                ; persistent_matmul.py:0:24
	s_or_b32 exec_lo, exec_lo, s9
	.loc	1 47 41 is_stmt 1               ; persistent_matmul.py:47:41
	v_or_b32_e32 v10, 28, v36
	scratch_store_b32 off, v10, off offset:580 ; 4-byte Folded Spill
	.loc	1 47 28 is_stmt 0               ; persistent_matmul.py:47:28
	v_or_b32_e32 v10, s5, v10
	s_delay_alu instid0(VALU_DEP_1) | instskip(SKIP_1) | instid1(VALU_DEP_1)
	.loc	1 49 37 is_stmt 1               ; persistent_matmul.py:49:37
	v_cmp_gt_i32_e32 vcc_lo, s22, v10
	.loc	1 49 49 is_stmt 0               ; persistent_matmul.py:49:49
	v_cndmask_b32_e32 v10, 0, v10, vcc_lo
	.loc	1 57 49 is_stmt 1               ; persistent_matmul.py:57:49
	v_mul_lo_u32 v10, v10, s24
	.loc	1 60 24                         ; persistent_matmul.py:60:24
	scratch_store_b32 off, v10, off offset:392 ; 4-byte Folded Spill
	s_and_saveexec_b32 s9, s6
	s_cbranch_execz .LBB0_17
; %bb.16:
	.loc	1 57 61                         ; persistent_matmul.py:57:61
	scratch_load_b32 v8, off, off offset:392 ; 4-byte Folded Reload
	s_waitcnt vmcnt(0)
	v_add_nc_u32_e32 v10, v8, v35
	s_delay_alu instid0(VALU_DEP_1) | instskip(NEXT) | instid1(VALU_DEP_1)
	.loc	1 57 30 is_stmt 0               ; persistent_matmul.py:57:30
	v_ashrrev_i32_e32 v11, 31, v10
	v_lshlrev_b64 v[10:11], 1, v[10:11]
	s_delay_alu instid0(VALU_DEP_1) | instskip(NEXT) | instid1(VALU_DEP_1)
	v_add_co_u32 v10, vcc_lo, s26, v10
	v_add_co_ci_u32_e64 v11, null, s27, v11, vcc_lo
	.loc	1 60 24 is_stmt 1               ; persistent_matmul.py:60:24
	global_load_u16 v8, v[10:11], off
.LBB0_17:
	.loc	1 0 24 is_stmt 0                ; persistent_matmul.py:0:24
	s_or_b32 exec_lo, exec_lo, s9
	.loc	1 47 41 is_stmt 1               ; persistent_matmul.py:47:41
	v_or_b32_e32 v10, 32, v36
	v_mov_b32_e32 v11, 0
	scratch_store_b32 off, v10, off offset:584 ; 4-byte Folded Spill
	.loc	1 47 28 is_stmt 0               ; persistent_matmul.py:47:28
	v_or_b32_e32 v10, s5, v10
	s_delay_alu instid0(VALU_DEP_1) | instskip(SKIP_1) | instid1(VALU_DEP_1)
	.loc	1 49 37 is_stmt 1               ; persistent_matmul.py:49:37
	v_cmp_gt_i32_e32 vcc_lo, s22, v10
	.loc	1 49 49 is_stmt 0               ; persistent_matmul.py:49:49
	v_cndmask_b32_e32 v10, 0, v10, vcc_lo
	.loc	1 57 49 is_stmt 1               ; persistent_matmul.py:57:49
	v_mul_lo_u32 v10, v10, s24
	scratch_store_b32 off, v10, off offset:396 ; 4-byte Folded Spill
	v_mov_b32_e32 v10, 0
	.loc	1 60 24                         ; persistent_matmul.py:60:24
	s_and_saveexec_b32 s9, s6
	s_cbranch_execz .LBB0_19
; %bb.18:
	.loc	1 57 61                         ; persistent_matmul.py:57:61
	scratch_load_b32 v11, off, off offset:396 ; 4-byte Folded Reload
	s_waitcnt vmcnt(0)
	v_add_nc_u32_e32 v11, v11, v35
	s_delay_alu instid0(VALU_DEP_1) | instskip(NEXT) | instid1(VALU_DEP_1)
	.loc	1 57 30 is_stmt 0               ; persistent_matmul.py:57:30
	v_ashrrev_i32_e32 v12, 31, v11
	v_lshlrev_b64 v[11:12], 1, v[11:12]
	s_delay_alu instid0(VALU_DEP_1) | instskip(NEXT) | instid1(VALU_DEP_1)
	v_add_co_u32 v11, vcc_lo, s26, v11
	v_add_co_ci_u32_e64 v12, null, s27, v12, vcc_lo
	.loc	1 60 24 is_stmt 1               ; persistent_matmul.py:60:24
	global_load_u16 v11, v[11:12], off
.LBB0_19:
	.loc	1 0 24 is_stmt 0                ; persistent_matmul.py:0:24
	s_or_b32 exec_lo, exec_lo, s9
	.loc	1 47 41 is_stmt 1               ; persistent_matmul.py:47:41
	v_or_b32_e32 v12, 36, v36
	scratch_store_b32 off, v12, off offset:588 ; 4-byte Folded Spill
	.loc	1 47 28 is_stmt 0               ; persistent_matmul.py:47:28
	v_or_b32_e32 v12, s5, v12
	s_delay_alu instid0(VALU_DEP_1) | instskip(SKIP_1) | instid1(VALU_DEP_1)
	.loc	1 49 37 is_stmt 1               ; persistent_matmul.py:49:37
	v_cmp_gt_i32_e32 vcc_lo, s22, v12
	.loc	1 49 49 is_stmt 0               ; persistent_matmul.py:49:49
	v_cndmask_b32_e32 v12, 0, v12, vcc_lo
	.loc	1 57 49 is_stmt 1               ; persistent_matmul.py:57:49
	v_mul_lo_u32 v12, v12, s24
	.loc	1 60 24                         ; persistent_matmul.py:60:24
	scratch_store_b32 off, v12, off offset:400 ; 4-byte Folded Spill
	s_and_saveexec_b32 s9, s6
	s_cbranch_execz .LBB0_21
; %bb.20:
	.loc	1 57 61                         ; persistent_matmul.py:57:61
	scratch_load_b32 v10, off, off offset:400 ; 4-byte Folded Reload
	s_waitcnt vmcnt(0)
	v_add_nc_u32_e32 v12, v10, v35
	s_delay_alu instid0(VALU_DEP_1) | instskip(NEXT) | instid1(VALU_DEP_1)
	.loc	1 57 30 is_stmt 0               ; persistent_matmul.py:57:30
	v_ashrrev_i32_e32 v13, 31, v12
	v_lshlrev_b64 v[12:13], 1, v[12:13]
	s_delay_alu instid0(VALU_DEP_1) | instskip(NEXT) | instid1(VALU_DEP_1)
	v_add_co_u32 v12, vcc_lo, s26, v12
	v_add_co_ci_u32_e64 v13, null, s27, v13, vcc_lo
	.loc	1 60 24 is_stmt 1               ; persistent_matmul.py:60:24
	global_load_u16 v10, v[12:13], off
.LBB0_21:
	.loc	1 0 24 is_stmt 0                ; persistent_matmul.py:0:24
	s_or_b32 exec_lo, exec_lo, s9
	.loc	1 47 41 is_stmt 1               ; persistent_matmul.py:47:41
	v_or_b32_e32 v12, 40, v36
	v_mov_b32_e32 v13, 0
	scratch_store_b32 off, v12, off offset:592 ; 4-byte Folded Spill
	.loc	1 47 28 is_stmt 0               ; persistent_matmul.py:47:28
	v_or_b32_e32 v12, s5, v12
	s_delay_alu instid0(VALU_DEP_1) | instskip(SKIP_1) | instid1(VALU_DEP_1)
	.loc	1 49 37 is_stmt 1               ; persistent_matmul.py:49:37
	v_cmp_gt_i32_e32 vcc_lo, s22, v12
	.loc	1 49 49 is_stmt 0               ; persistent_matmul.py:49:49
	v_cndmask_b32_e32 v12, 0, v12, vcc_lo
	.loc	1 57 49 is_stmt 1               ; persistent_matmul.py:57:49
	v_mul_lo_u32 v12, v12, s24
	scratch_store_b32 off, v12, off offset:404 ; 4-byte Folded Spill
	v_mov_b32_e32 v12, 0
	.loc	1 60 24                         ; persistent_matmul.py:60:24
	s_and_saveexec_b32 s9, s6
	s_cbranch_execz .LBB0_23
; %bb.22:
	.loc	1 57 61                         ; persistent_matmul.py:57:61
	scratch_load_b32 v13, off, off offset:404 ; 4-byte Folded Reload
	s_waitcnt vmcnt(0)
	v_add_nc_u32_e32 v13, v13, v35
	s_delay_alu instid0(VALU_DEP_1) | instskip(NEXT) | instid1(VALU_DEP_1)
	.loc	1 57 30 is_stmt 0               ; persistent_matmul.py:57:30
	v_ashrrev_i32_e32 v14, 31, v13
	v_lshlrev_b64 v[13:14], 1, v[13:14]
	s_delay_alu instid0(VALU_DEP_1) | instskip(NEXT) | instid1(VALU_DEP_1)
	v_add_co_u32 v13, vcc_lo, s26, v13
	v_add_co_ci_u32_e64 v14, null, s27, v14, vcc_lo
	.loc	1 60 24 is_stmt 1               ; persistent_matmul.py:60:24
	global_load_u16 v13, v[13:14], off
.LBB0_23:
	.loc	1 0 24 is_stmt 0                ; persistent_matmul.py:0:24
	s_or_b32 exec_lo, exec_lo, s9
	.loc	1 47 41 is_stmt 1               ; persistent_matmul.py:47:41
	v_or_b32_e32 v14, 44, v36
	scratch_store_b32 off, v14, off offset:596 ; 4-byte Folded Spill
	.loc	1 47 28 is_stmt 0               ; persistent_matmul.py:47:28
	v_or_b32_e32 v14, s5, v14
	s_delay_alu instid0(VALU_DEP_1) | instskip(SKIP_1) | instid1(VALU_DEP_1)
	.loc	1 49 37 is_stmt 1               ; persistent_matmul.py:49:37
	v_cmp_gt_i32_e32 vcc_lo, s22, v14
	.loc	1 49 49 is_stmt 0               ; persistent_matmul.py:49:49
	v_cndmask_b32_e32 v14, 0, v14, vcc_lo
	.loc	1 57 49 is_stmt 1               ; persistent_matmul.py:57:49
	v_mul_lo_u32 v14, v14, s24
	.loc	1 60 24                         ; persistent_matmul.py:60:24
	scratch_store_b32 off, v14, off offset:408 ; 4-byte Folded Spill
	s_and_saveexec_b32 s9, s6
	s_cbranch_execz .LBB0_25
; %bb.24:
	.loc	1 57 61                         ; persistent_matmul.py:57:61
	scratch_load_b32 v12, off, off offset:408 ; 4-byte Folded Reload
	s_waitcnt vmcnt(0)
	v_add_nc_u32_e32 v14, v12, v35
	s_delay_alu instid0(VALU_DEP_1) | instskip(NEXT) | instid1(VALU_DEP_1)
	.loc	1 57 30 is_stmt 0               ; persistent_matmul.py:57:30
	v_ashrrev_i32_e32 v15, 31, v14
	v_lshlrev_b64 v[14:15], 1, v[14:15]
	s_delay_alu instid0(VALU_DEP_1) | instskip(NEXT) | instid1(VALU_DEP_1)
	v_add_co_u32 v14, vcc_lo, s26, v14
	v_add_co_ci_u32_e64 v15, null, s27, v15, vcc_lo
	.loc	1 60 24 is_stmt 1               ; persistent_matmul.py:60:24
	global_load_u16 v12, v[14:15], off
.LBB0_25:
	.loc	1 0 24 is_stmt 0                ; persistent_matmul.py:0:24
	s_or_b32 exec_lo, exec_lo, s9
	.loc	1 47 41 is_stmt 1               ; persistent_matmul.py:47:41
	v_or_b32_e32 v14, 48, v36
	v_mov_b32_e32 v15, 0
	scratch_store_b32 off, v14, off offset:600 ; 4-byte Folded Spill
	.loc	1 47 28 is_stmt 0               ; persistent_matmul.py:47:28
	v_or_b32_e32 v14, s5, v14
	s_delay_alu instid0(VALU_DEP_1) | instskip(SKIP_1) | instid1(VALU_DEP_1)
	.loc	1 49 37 is_stmt 1               ; persistent_matmul.py:49:37
	v_cmp_gt_i32_e32 vcc_lo, s22, v14
	.loc	1 49 49 is_stmt 0               ; persistent_matmul.py:49:49
	v_cndmask_b32_e32 v14, 0, v14, vcc_lo
	.loc	1 57 49 is_stmt 1               ; persistent_matmul.py:57:49
	v_mul_lo_u32 v14, v14, s24
	scratch_store_b32 off, v14, off offset:412 ; 4-byte Folded Spill
	v_mov_b32_e32 v14, 0
	.loc	1 60 24                         ; persistent_matmul.py:60:24
	s_and_saveexec_b32 s9, s6
	s_cbranch_execz .LBB0_27
; %bb.26:
	.loc	1 57 61                         ; persistent_matmul.py:57:61
	scratch_load_b32 v15, off, off offset:412 ; 4-byte Folded Reload
	s_waitcnt vmcnt(0)
	v_add_nc_u32_e32 v15, v15, v35
	s_delay_alu instid0(VALU_DEP_1) | instskip(NEXT) | instid1(VALU_DEP_1)
	.loc	1 57 30 is_stmt 0               ; persistent_matmul.py:57:30
	v_ashrrev_i32_e32 v16, 31, v15
	v_lshlrev_b64 v[15:16], 1, v[15:16]
	s_delay_alu instid0(VALU_DEP_1) | instskip(NEXT) | instid1(VALU_DEP_1)
	v_add_co_u32 v15, vcc_lo, s26, v15
	v_add_co_ci_u32_e64 v16, null, s27, v16, vcc_lo
	.loc	1 60 24 is_stmt 1               ; persistent_matmul.py:60:24
	global_load_u16 v15, v[15:16], off
.LBB0_27:
	.loc	1 0 24 is_stmt 0                ; persistent_matmul.py:0:24
	s_or_b32 exec_lo, exec_lo, s9
	.loc	1 47 41 is_stmt 1               ; persistent_matmul.py:47:41
	v_or_b32_e32 v16, 52, v36
	scratch_store_b32 off, v16, off offset:604 ; 4-byte Folded Spill
	.loc	1 47 28 is_stmt 0               ; persistent_matmul.py:47:28
	v_or_b32_e32 v16, s5, v16
	s_delay_alu instid0(VALU_DEP_1) | instskip(SKIP_1) | instid1(VALU_DEP_1)
	.loc	1 49 37 is_stmt 1               ; persistent_matmul.py:49:37
	v_cmp_gt_i32_e32 vcc_lo, s22, v16
	.loc	1 49 49 is_stmt 0               ; persistent_matmul.py:49:49
	v_cndmask_b32_e32 v16, 0, v16, vcc_lo
	.loc	1 57 49 is_stmt 1               ; persistent_matmul.py:57:49
	v_mul_lo_u32 v16, v16, s24
	.loc	1 60 24                         ; persistent_matmul.py:60:24
	scratch_store_b32 off, v16, off offset:416 ; 4-byte Folded Spill
	s_and_saveexec_b32 s9, s6
	s_cbranch_execz .LBB0_29
; %bb.28:
	.loc	1 57 61                         ; persistent_matmul.py:57:61
	scratch_load_b32 v14, off, off offset:416 ; 4-byte Folded Reload
	s_waitcnt vmcnt(0)
	v_add_nc_u32_e32 v16, v14, v35
	s_delay_alu instid0(VALU_DEP_1) | instskip(NEXT) | instid1(VALU_DEP_1)
	.loc	1 57 30 is_stmt 0               ; persistent_matmul.py:57:30
	v_ashrrev_i32_e32 v17, 31, v16
	v_lshlrev_b64 v[16:17], 1, v[16:17]
	s_delay_alu instid0(VALU_DEP_1) | instskip(NEXT) | instid1(VALU_DEP_1)
	v_add_co_u32 v16, vcc_lo, s26, v16
	v_add_co_ci_u32_e64 v17, null, s27, v17, vcc_lo
	.loc	1 60 24 is_stmt 1               ; persistent_matmul.py:60:24
	global_load_u16 v14, v[16:17], off
.LBB0_29:
	.loc	1 0 24 is_stmt 0                ; persistent_matmul.py:0:24
	s_or_b32 exec_lo, exec_lo, s9
	.loc	1 47 41 is_stmt 1               ; persistent_matmul.py:47:41
	v_or_b32_e32 v16, 56, v36
	v_mov_b32_e32 v17, 0
	scratch_store_b32 off, v16, off offset:608 ; 4-byte Folded Spill
	.loc	1 47 28 is_stmt 0               ; persistent_matmul.py:47:28
	v_or_b32_e32 v16, s5, v16
	s_delay_alu instid0(VALU_DEP_1) | instskip(SKIP_1) | instid1(VALU_DEP_1)
	.loc	1 49 37 is_stmt 1               ; persistent_matmul.py:49:37
	v_cmp_gt_i32_e32 vcc_lo, s22, v16
	.loc	1 49 49 is_stmt 0               ; persistent_matmul.py:49:49
	v_cndmask_b32_e32 v16, 0, v16, vcc_lo
	.loc	1 57 49 is_stmt 1               ; persistent_matmul.py:57:49
	v_mul_lo_u32 v16, v16, s24
	scratch_store_b32 off, v16, off offset:420 ; 4-byte Folded Spill
	v_mov_b32_e32 v16, 0
	.loc	1 60 24                         ; persistent_matmul.py:60:24
	s_and_saveexec_b32 s9, s6
	s_cbranch_execz .LBB0_31
; %bb.30:
	.loc	1 57 61                         ; persistent_matmul.py:57:61
	scratch_load_b32 v17, off, off offset:420 ; 4-byte Folded Reload
	s_waitcnt vmcnt(0)
	v_add_nc_u32_e32 v17, v17, v35
	s_delay_alu instid0(VALU_DEP_1) | instskip(NEXT) | instid1(VALU_DEP_1)
	.loc	1 57 30 is_stmt 0               ; persistent_matmul.py:57:30
	v_ashrrev_i32_e32 v18, 31, v17
	v_lshlrev_b64 v[17:18], 1, v[17:18]
	s_delay_alu instid0(VALU_DEP_1) | instskip(NEXT) | instid1(VALU_DEP_1)
	v_add_co_u32 v17, vcc_lo, s26, v17
	v_add_co_ci_u32_e64 v18, null, s27, v18, vcc_lo
	.loc	1 60 24 is_stmt 1               ; persistent_matmul.py:60:24
	global_load_u16 v17, v[17:18], off
.LBB0_31:
	.loc	1 0 24 is_stmt 0                ; persistent_matmul.py:0:24
	s_or_b32 exec_lo, exec_lo, s9
	.loc	1 47 41 is_stmt 1               ; persistent_matmul.py:47:41
	v_or_b32_e32 v18, 60, v36
	scratch_store_b32 off, v18, off offset:612 ; 4-byte Folded Spill
	.loc	1 47 28 is_stmt 0               ; persistent_matmul.py:47:28
	v_or_b32_e32 v18, s5, v18
	s_delay_alu instid0(VALU_DEP_1) | instskip(SKIP_1) | instid1(VALU_DEP_1)
	.loc	1 49 37 is_stmt 1               ; persistent_matmul.py:49:37
	v_cmp_gt_i32_e32 vcc_lo, s22, v18
	.loc	1 49 49 is_stmt 0               ; persistent_matmul.py:49:49
	v_cndmask_b32_e32 v18, 0, v18, vcc_lo
	.loc	1 57 49 is_stmt 1               ; persistent_matmul.py:57:49
	v_mul_lo_u32 v18, v18, s24
	.loc	1 60 24                         ; persistent_matmul.py:60:24
	scratch_store_b32 off, v18, off offset:424 ; 4-byte Folded Spill
	s_and_saveexec_b32 s9, s6
	s_cbranch_execz .LBB0_33
; %bb.32:
	.loc	1 57 61                         ; persistent_matmul.py:57:61
	scratch_load_b32 v16, off, off offset:424 ; 4-byte Folded Reload
	s_waitcnt vmcnt(0)
	v_add_nc_u32_e32 v18, v16, v35
	s_delay_alu instid0(VALU_DEP_1) | instskip(NEXT) | instid1(VALU_DEP_1)
	.loc	1 57 30 is_stmt 0               ; persistent_matmul.py:57:30
	v_ashrrev_i32_e32 v19, 31, v18
	v_lshlrev_b64 v[18:19], 1, v[18:19]
	s_delay_alu instid0(VALU_DEP_1) | instskip(NEXT) | instid1(VALU_DEP_1)
	v_add_co_u32 v18, vcc_lo, s26, v18
	v_add_co_ci_u32_e64 v19, null, s27, v19, vcc_lo
	.loc	1 60 24 is_stmt 1               ; persistent_matmul.py:60:24
	global_load_u16 v16, v[18:19], off
.LBB0_33:
	.loc	1 0 24 is_stmt 0                ; persistent_matmul.py:0:24
	s_or_b32 exec_lo, exec_lo, s9
	.loc	1 47 41 is_stmt 1               ; persistent_matmul.py:47:41
	v_or_b32_e32 v18, 64, v36
	v_mov_b32_e32 v19, 0
	scratch_store_b32 off, v18, off offset:616 ; 4-byte Folded Spill
	.loc	1 47 28 is_stmt 0               ; persistent_matmul.py:47:28
	v_or_b32_e32 v18, s5, v18
	s_delay_alu instid0(VALU_DEP_1) | instskip(SKIP_1) | instid1(VALU_DEP_1)
	.loc	1 49 37 is_stmt 1               ; persistent_matmul.py:49:37
	v_cmp_gt_i32_e32 vcc_lo, s22, v18
	.loc	1 49 49 is_stmt 0               ; persistent_matmul.py:49:49
	v_cndmask_b32_e32 v18, 0, v18, vcc_lo
	.loc	1 57 49 is_stmt 1               ; persistent_matmul.py:57:49
	v_mul_lo_u32 v18, v18, s24
	scratch_store_b32 off, v18, off offset:428 ; 4-byte Folded Spill
	v_mov_b32_e32 v18, 0
	.loc	1 60 24                         ; persistent_matmul.py:60:24
	s_and_saveexec_b32 s9, s6
	s_cbranch_execz .LBB0_35
; %bb.34:
	.loc	1 57 61                         ; persistent_matmul.py:57:61
	scratch_load_b32 v19, off, off offset:428 ; 4-byte Folded Reload
	s_waitcnt vmcnt(0)
	v_add_nc_u32_e32 v19, v19, v35
	s_delay_alu instid0(VALU_DEP_1) | instskip(NEXT) | instid1(VALU_DEP_1)
	.loc	1 57 30 is_stmt 0               ; persistent_matmul.py:57:30
	v_ashrrev_i32_e32 v20, 31, v19
	v_lshlrev_b64 v[19:20], 1, v[19:20]
	s_delay_alu instid0(VALU_DEP_1) | instskip(NEXT) | instid1(VALU_DEP_1)
	v_add_co_u32 v19, vcc_lo, s26, v19
	v_add_co_ci_u32_e64 v20, null, s27, v20, vcc_lo
	.loc	1 60 24 is_stmt 1               ; persistent_matmul.py:60:24
	global_load_u16 v19, v[19:20], off
.LBB0_35:
	.loc	1 0 24 is_stmt 0                ; persistent_matmul.py:0:24
	s_or_b32 exec_lo, exec_lo, s9
	.loc	1 47 41 is_stmt 1               ; persistent_matmul.py:47:41
	v_or_b32_e32 v20, 0x44, v36
	scratch_store_b32 off, v20, off offset:620 ; 4-byte Folded Spill
	.loc	1 47 28 is_stmt 0               ; persistent_matmul.py:47:28
	v_or_b32_e32 v20, s5, v20
	s_delay_alu instid0(VALU_DEP_1) | instskip(SKIP_1) | instid1(VALU_DEP_1)
	.loc	1 49 37 is_stmt 1               ; persistent_matmul.py:49:37
	v_cmp_gt_i32_e32 vcc_lo, s22, v20
	.loc	1 49 49 is_stmt 0               ; persistent_matmul.py:49:49
	v_cndmask_b32_e32 v20, 0, v20, vcc_lo
	.loc	1 57 49 is_stmt 1               ; persistent_matmul.py:57:49
	v_mul_lo_u32 v20, v20, s24
	.loc	1 60 24                         ; persistent_matmul.py:60:24
	scratch_store_b32 off, v20, off offset:432 ; 4-byte Folded Spill
	s_and_saveexec_b32 s9, s6
	s_cbranch_execz .LBB0_37
; %bb.36:
	.loc	1 57 61                         ; persistent_matmul.py:57:61
	scratch_load_b32 v18, off, off offset:432 ; 4-byte Folded Reload
	s_waitcnt vmcnt(0)
	v_add_nc_u32_e32 v20, v18, v35
	s_delay_alu instid0(VALU_DEP_1) | instskip(NEXT) | instid1(VALU_DEP_1)
	.loc	1 57 30 is_stmt 0               ; persistent_matmul.py:57:30
	v_ashrrev_i32_e32 v21, 31, v20
	v_lshlrev_b64 v[20:21], 1, v[20:21]
	s_delay_alu instid0(VALU_DEP_1) | instskip(NEXT) | instid1(VALU_DEP_1)
	v_add_co_u32 v20, vcc_lo, s26, v20
	v_add_co_ci_u32_e64 v21, null, s27, v21, vcc_lo
	.loc	1 60 24 is_stmt 1               ; persistent_matmul.py:60:24
	global_load_u16 v18, v[20:21], off
.LBB0_37:
	.loc	1 0 24 is_stmt 0                ; persistent_matmul.py:0:24
	s_or_b32 exec_lo, exec_lo, s9
	.loc	1 47 41 is_stmt 1               ; persistent_matmul.py:47:41
	v_or_b32_e32 v20, 0x48, v36
	v_mov_b32_e32 v21, 0
	scratch_store_b32 off, v20, off offset:624 ; 4-byte Folded Spill
	.loc	1 47 28 is_stmt 0               ; persistent_matmul.py:47:28
	v_or_b32_e32 v20, s5, v20
	s_delay_alu instid0(VALU_DEP_1) | instskip(SKIP_1) | instid1(VALU_DEP_1)
	.loc	1 49 37 is_stmt 1               ; persistent_matmul.py:49:37
	v_cmp_gt_i32_e32 vcc_lo, s22, v20
	.loc	1 49 49 is_stmt 0               ; persistent_matmul.py:49:49
	v_cndmask_b32_e32 v20, 0, v20, vcc_lo
	.loc	1 57 49 is_stmt 1               ; persistent_matmul.py:57:49
	v_mul_lo_u32 v20, v20, s24
	scratch_store_b32 off, v20, off offset:436 ; 4-byte Folded Spill
	v_mov_b32_e32 v20, 0
	.loc	1 60 24                         ; persistent_matmul.py:60:24
	s_and_saveexec_b32 s9, s6
	s_cbranch_execz .LBB0_39
; %bb.38:
	.loc	1 57 61                         ; persistent_matmul.py:57:61
	scratch_load_b32 v21, off, off offset:436 ; 4-byte Folded Reload
	s_waitcnt vmcnt(0)
	v_add_nc_u32_e32 v21, v21, v35
	s_delay_alu instid0(VALU_DEP_1) | instskip(NEXT) | instid1(VALU_DEP_1)
	.loc	1 57 30 is_stmt 0               ; persistent_matmul.py:57:30
	v_ashrrev_i32_e32 v22, 31, v21
	v_lshlrev_b64 v[21:22], 1, v[21:22]
	s_delay_alu instid0(VALU_DEP_1) | instskip(NEXT) | instid1(VALU_DEP_1)
	v_add_co_u32 v21, vcc_lo, s26, v21
	v_add_co_ci_u32_e64 v22, null, s27, v22, vcc_lo
	.loc	1 60 24 is_stmt 1               ; persistent_matmul.py:60:24
	global_load_u16 v21, v[21:22], off
.LBB0_39:
	.loc	1 0 24 is_stmt 0                ; persistent_matmul.py:0:24
	s_or_b32 exec_lo, exec_lo, s9
	.loc	1 47 41 is_stmt 1               ; persistent_matmul.py:47:41
	v_or_b32_e32 v22, 0x4c, v36
	scratch_store_b32 off, v22, off offset:628 ; 4-byte Folded Spill
	.loc	1 47 28 is_stmt 0               ; persistent_matmul.py:47:28
	v_or_b32_e32 v22, s5, v22
	s_delay_alu instid0(VALU_DEP_1) | instskip(SKIP_1) | instid1(VALU_DEP_1)
	.loc	1 49 37 is_stmt 1               ; persistent_matmul.py:49:37
	v_cmp_gt_i32_e32 vcc_lo, s22, v22
	.loc	1 49 49 is_stmt 0               ; persistent_matmul.py:49:49
	v_cndmask_b32_e32 v22, 0, v22, vcc_lo
	.loc	1 57 49 is_stmt 1               ; persistent_matmul.py:57:49
	v_mul_lo_u32 v22, v22, s24
	.loc	1 60 24                         ; persistent_matmul.py:60:24
	scratch_store_b32 off, v22, off offset:440 ; 4-byte Folded Spill
	s_and_saveexec_b32 s9, s6
	s_cbranch_execz .LBB0_41
; %bb.40:
	.loc	1 57 61                         ; persistent_matmul.py:57:61
	scratch_load_b32 v20, off, off offset:440 ; 4-byte Folded Reload
	s_waitcnt vmcnt(0)
	v_add_nc_u32_e32 v22, v20, v35
	s_delay_alu instid0(VALU_DEP_1) | instskip(NEXT) | instid1(VALU_DEP_1)
	.loc	1 57 30 is_stmt 0               ; persistent_matmul.py:57:30
	v_ashrrev_i32_e32 v23, 31, v22
	v_lshlrev_b64 v[22:23], 1, v[22:23]
	s_delay_alu instid0(VALU_DEP_1) | instskip(NEXT) | instid1(VALU_DEP_1)
	v_add_co_u32 v22, vcc_lo, s26, v22
	v_add_co_ci_u32_e64 v23, null, s27, v23, vcc_lo
	.loc	1 60 24 is_stmt 1               ; persistent_matmul.py:60:24
	global_load_u16 v20, v[22:23], off
.LBB0_41:
	.loc	1 0 24 is_stmt 0                ; persistent_matmul.py:0:24
	s_or_b32 exec_lo, exec_lo, s9
	.loc	1 47 41 is_stmt 1               ; persistent_matmul.py:47:41
	v_or_b32_e32 v22, 0x50, v36
	v_mov_b32_e32 v23, 0
	scratch_store_b32 off, v22, off offset:632 ; 4-byte Folded Spill
	.loc	1 47 28 is_stmt 0               ; persistent_matmul.py:47:28
	v_or_b32_e32 v22, s5, v22
	s_delay_alu instid0(VALU_DEP_1) | instskip(SKIP_1) | instid1(VALU_DEP_1)
	.loc	1 49 37 is_stmt 1               ; persistent_matmul.py:49:37
	v_cmp_gt_i32_e32 vcc_lo, s22, v22
	.loc	1 49 49 is_stmt 0               ; persistent_matmul.py:49:49
	v_cndmask_b32_e32 v22, 0, v22, vcc_lo
	.loc	1 57 49 is_stmt 1               ; persistent_matmul.py:57:49
	v_mul_lo_u32 v22, v22, s24
	scratch_store_b32 off, v22, off offset:444 ; 4-byte Folded Spill
	v_mov_b32_e32 v22, 0
	.loc	1 60 24                         ; persistent_matmul.py:60:24
	s_and_saveexec_b32 s9, s6
	s_cbranch_execz .LBB0_43
; %bb.42:
	.loc	1 57 61                         ; persistent_matmul.py:57:61
	scratch_load_b32 v23, off, off offset:444 ; 4-byte Folded Reload
	s_waitcnt vmcnt(0)
	v_add_nc_u32_e32 v23, v23, v35
	s_delay_alu instid0(VALU_DEP_1) | instskip(NEXT) | instid1(VALU_DEP_1)
	.loc	1 57 30 is_stmt 0               ; persistent_matmul.py:57:30
	v_ashrrev_i32_e32 v24, 31, v23
	v_lshlrev_b64 v[23:24], 1, v[23:24]
	s_delay_alu instid0(VALU_DEP_1) | instskip(NEXT) | instid1(VALU_DEP_1)
	v_add_co_u32 v23, vcc_lo, s26, v23
	v_add_co_ci_u32_e64 v24, null, s27, v24, vcc_lo
	.loc	1 60 24 is_stmt 1               ; persistent_matmul.py:60:24
	global_load_u16 v23, v[23:24], off
.LBB0_43:
	.loc	1 0 24 is_stmt 0                ; persistent_matmul.py:0:24
	s_or_b32 exec_lo, exec_lo, s9
	.loc	1 47 41 is_stmt 1               ; persistent_matmul.py:47:41
	v_or_b32_e32 v24, 0x54, v36
	scratch_store_b32 off, v24, off offset:636 ; 4-byte Folded Spill
	.loc	1 47 28 is_stmt 0               ; persistent_matmul.py:47:28
	v_or_b32_e32 v24, s5, v24
	s_delay_alu instid0(VALU_DEP_1) | instskip(SKIP_1) | instid1(VALU_DEP_1)
	.loc	1 49 37 is_stmt 1               ; persistent_matmul.py:49:37
	v_cmp_gt_i32_e32 vcc_lo, s22, v24
	.loc	1 49 49 is_stmt 0               ; persistent_matmul.py:49:49
	v_cndmask_b32_e32 v24, 0, v24, vcc_lo
	.loc	1 57 49 is_stmt 1               ; persistent_matmul.py:57:49
	v_mul_lo_u32 v24, v24, s24
	.loc	1 60 24                         ; persistent_matmul.py:60:24
	scratch_store_b32 off, v24, off offset:448 ; 4-byte Folded Spill
	s_and_saveexec_b32 s9, s6
	s_cbranch_execz .LBB0_45
; %bb.44:
	.loc	1 57 61                         ; persistent_matmul.py:57:61
	scratch_load_b32 v22, off, off offset:448 ; 4-byte Folded Reload
	s_waitcnt vmcnt(0)
	v_add_nc_u32_e32 v24, v22, v35
	s_delay_alu instid0(VALU_DEP_1) | instskip(NEXT) | instid1(VALU_DEP_1)
	.loc	1 57 30 is_stmt 0               ; persistent_matmul.py:57:30
	v_ashrrev_i32_e32 v25, 31, v24
	v_lshlrev_b64 v[24:25], 1, v[24:25]
	s_delay_alu instid0(VALU_DEP_1) | instskip(NEXT) | instid1(VALU_DEP_1)
	v_add_co_u32 v24, vcc_lo, s26, v24
	v_add_co_ci_u32_e64 v25, null, s27, v25, vcc_lo
	.loc	1 60 24 is_stmt 1               ; persistent_matmul.py:60:24
	global_load_u16 v22, v[24:25], off
.LBB0_45:
	.loc	1 0 24 is_stmt 0                ; persistent_matmul.py:0:24
	s_or_b32 exec_lo, exec_lo, s9
	.loc	1 47 41 is_stmt 1               ; persistent_matmul.py:47:41
	v_or_b32_e32 v24, 0x58, v36
	v_mov_b32_e32 v25, 0
	scratch_store_b32 off, v24, off offset:640 ; 4-byte Folded Spill
	.loc	1 47 28 is_stmt 0               ; persistent_matmul.py:47:28
	v_or_b32_e32 v24, s5, v24
	s_delay_alu instid0(VALU_DEP_1) | instskip(SKIP_1) | instid1(VALU_DEP_1)
	.loc	1 49 37 is_stmt 1               ; persistent_matmul.py:49:37
	v_cmp_gt_i32_e32 vcc_lo, s22, v24
	.loc	1 49 49 is_stmt 0               ; persistent_matmul.py:49:49
	v_cndmask_b32_e32 v24, 0, v24, vcc_lo
	.loc	1 57 49 is_stmt 1               ; persistent_matmul.py:57:49
	v_mul_lo_u32 v24, v24, s24
	scratch_store_b32 off, v24, off offset:452 ; 4-byte Folded Spill
	v_mov_b32_e32 v24, 0
	.loc	1 60 24                         ; persistent_matmul.py:60:24
	s_and_saveexec_b32 s9, s6
	s_cbranch_execz .LBB0_47
; %bb.46:
	.loc	1 57 61                         ; persistent_matmul.py:57:61
	scratch_load_b32 v25, off, off offset:452 ; 4-byte Folded Reload
	s_waitcnt vmcnt(0)
	v_add_nc_u32_e32 v25, v25, v35
	s_delay_alu instid0(VALU_DEP_1) | instskip(NEXT) | instid1(VALU_DEP_1)
	.loc	1 57 30 is_stmt 0               ; persistent_matmul.py:57:30
	v_ashrrev_i32_e32 v26, 31, v25
	v_lshlrev_b64 v[25:26], 1, v[25:26]
	s_delay_alu instid0(VALU_DEP_1) | instskip(NEXT) | instid1(VALU_DEP_1)
	v_add_co_u32 v25, vcc_lo, s26, v25
	v_add_co_ci_u32_e64 v26, null, s27, v26, vcc_lo
	.loc	1 60 24 is_stmt 1               ; persistent_matmul.py:60:24
	global_load_u16 v25, v[25:26], off
.LBB0_47:
	.loc	1 0 24 is_stmt 0                ; persistent_matmul.py:0:24
	s_or_b32 exec_lo, exec_lo, s9
	.loc	1 47 41 is_stmt 1               ; persistent_matmul.py:47:41
	v_or_b32_e32 v26, 0x5c, v36
	scratch_store_b32 off, v26, off offset:644 ; 4-byte Folded Spill
	.loc	1 47 28 is_stmt 0               ; persistent_matmul.py:47:28
	v_or_b32_e32 v26, s5, v26
	s_delay_alu instid0(VALU_DEP_1) | instskip(SKIP_1) | instid1(VALU_DEP_1)
	.loc	1 49 37 is_stmt 1               ; persistent_matmul.py:49:37
	v_cmp_gt_i32_e32 vcc_lo, s22, v26
	.loc	1 49 49 is_stmt 0               ; persistent_matmul.py:49:49
	v_cndmask_b32_e32 v26, 0, v26, vcc_lo
	.loc	1 57 49 is_stmt 1               ; persistent_matmul.py:57:49
	v_mul_lo_u32 v26, v26, s24
	.loc	1 60 24                         ; persistent_matmul.py:60:24
	scratch_store_b32 off, v26, off offset:456 ; 4-byte Folded Spill
	s_and_saveexec_b32 s9, s6
	s_cbranch_execz .LBB0_49
; %bb.48:
	.loc	1 57 61                         ; persistent_matmul.py:57:61
	scratch_load_b32 v24, off, off offset:456 ; 4-byte Folded Reload
	s_waitcnt vmcnt(0)
	v_add_nc_u32_e32 v26, v24, v35
	s_delay_alu instid0(VALU_DEP_1) | instskip(NEXT) | instid1(VALU_DEP_1)
	.loc	1 57 30 is_stmt 0               ; persistent_matmul.py:57:30
	v_ashrrev_i32_e32 v27, 31, v26
	v_lshlrev_b64 v[26:27], 1, v[26:27]
	s_delay_alu instid0(VALU_DEP_1) | instskip(NEXT) | instid1(VALU_DEP_1)
	v_add_co_u32 v26, vcc_lo, s26, v26
	v_add_co_ci_u32_e64 v27, null, s27, v27, vcc_lo
	.loc	1 60 24 is_stmt 1               ; persistent_matmul.py:60:24
	global_load_u16 v24, v[26:27], off
.LBB0_49:
	.loc	1 0 24 is_stmt 0                ; persistent_matmul.py:0:24
	s_or_b32 exec_lo, exec_lo, s9
	.loc	1 47 41 is_stmt 1               ; persistent_matmul.py:47:41
	v_or_b32_e32 v26, 0x60, v36
	v_mov_b32_e32 v27, 0
	scratch_store_b32 off, v26, off offset:648 ; 4-byte Folded Spill
	.loc	1 47 28 is_stmt 0               ; persistent_matmul.py:47:28
	v_or_b32_e32 v26, s5, v26
	s_delay_alu instid0(VALU_DEP_1) | instskip(SKIP_1) | instid1(VALU_DEP_1)
	.loc	1 49 37 is_stmt 1               ; persistent_matmul.py:49:37
	v_cmp_gt_i32_e32 vcc_lo, s22, v26
	.loc	1 49 49 is_stmt 0               ; persistent_matmul.py:49:49
	v_cndmask_b32_e32 v26, 0, v26, vcc_lo
	.loc	1 57 49 is_stmt 1               ; persistent_matmul.py:57:49
	v_mul_lo_u32 v26, v26, s24
	scratch_store_b32 off, v26, off offset:460 ; 4-byte Folded Spill
	v_mov_b32_e32 v26, 0
	.loc	1 60 24                         ; persistent_matmul.py:60:24
	s_and_saveexec_b32 s9, s6
	s_cbranch_execz .LBB0_51
; %bb.50:
	.loc	1 57 61                         ; persistent_matmul.py:57:61
	scratch_load_b32 v27, off, off offset:460 ; 4-byte Folded Reload
	s_waitcnt vmcnt(0)
	v_add_nc_u32_e32 v27, v27, v35
	s_delay_alu instid0(VALU_DEP_1) | instskip(NEXT) | instid1(VALU_DEP_1)
	.loc	1 57 30 is_stmt 0               ; persistent_matmul.py:57:30
	v_ashrrev_i32_e32 v28, 31, v27
	v_lshlrev_b64 v[27:28], 1, v[27:28]
	s_delay_alu instid0(VALU_DEP_1) | instskip(NEXT) | instid1(VALU_DEP_1)
	v_add_co_u32 v27, vcc_lo, s26, v27
	v_add_co_ci_u32_e64 v28, null, s27, v28, vcc_lo
	.loc	1 60 24 is_stmt 1               ; persistent_matmul.py:60:24
	global_load_u16 v27, v[27:28], off
.LBB0_51:
	.loc	1 0 24 is_stmt 0                ; persistent_matmul.py:0:24
	s_or_b32 exec_lo, exec_lo, s9
	.loc	1 47 41 is_stmt 1               ; persistent_matmul.py:47:41
	v_or_b32_e32 v28, 0x64, v36
	scratch_store_b32 off, v28, off offset:652 ; 4-byte Folded Spill
	.loc	1 47 28 is_stmt 0               ; persistent_matmul.py:47:28
	v_or_b32_e32 v28, s5, v28
	s_delay_alu instid0(VALU_DEP_1) | instskip(SKIP_1) | instid1(VALU_DEP_1)
	.loc	1 49 37 is_stmt 1               ; persistent_matmul.py:49:37
	v_cmp_gt_i32_e32 vcc_lo, s22, v28
	.loc	1 49 49 is_stmt 0               ; persistent_matmul.py:49:49
	v_cndmask_b32_e32 v28, 0, v28, vcc_lo
	.loc	1 57 49 is_stmt 1               ; persistent_matmul.py:57:49
	v_mul_lo_u32 v28, v28, s24
	.loc	1 60 24                         ; persistent_matmul.py:60:24
	scratch_store_b32 off, v28, off offset:464 ; 4-byte Folded Spill
	s_and_saveexec_b32 s9, s6
	s_cbranch_execz .LBB0_53
; %bb.52:
	.loc	1 57 61                         ; persistent_matmul.py:57:61
	scratch_load_b32 v26, off, off offset:464 ; 4-byte Folded Reload
	s_waitcnt vmcnt(0)
	v_add_nc_u32_e32 v28, v26, v35
	s_delay_alu instid0(VALU_DEP_1) | instskip(NEXT) | instid1(VALU_DEP_1)
	.loc	1 57 30 is_stmt 0               ; persistent_matmul.py:57:30
	v_ashrrev_i32_e32 v29, 31, v28
	v_lshlrev_b64 v[28:29], 1, v[28:29]
	s_delay_alu instid0(VALU_DEP_1) | instskip(NEXT) | instid1(VALU_DEP_1)
	v_add_co_u32 v28, vcc_lo, s26, v28
	v_add_co_ci_u32_e64 v29, null, s27, v29, vcc_lo
	.loc	1 60 24 is_stmt 1               ; persistent_matmul.py:60:24
	global_load_u16 v26, v[28:29], off
.LBB0_53:
	.loc	1 0 24 is_stmt 0                ; persistent_matmul.py:0:24
	s_or_b32 exec_lo, exec_lo, s9
	.loc	1 47 41 is_stmt 1               ; persistent_matmul.py:47:41
	v_or_b32_e32 v28, 0x68, v36
	v_mov_b32_e32 v29, 0
	scratch_store_b32 off, v28, off offset:656 ; 4-byte Folded Spill
	.loc	1 47 28 is_stmt 0               ; persistent_matmul.py:47:28
	v_or_b32_e32 v28, s5, v28
	s_delay_alu instid0(VALU_DEP_1) | instskip(SKIP_1) | instid1(VALU_DEP_1)
	.loc	1 49 37 is_stmt 1               ; persistent_matmul.py:49:37
	v_cmp_gt_i32_e32 vcc_lo, s22, v28
	.loc	1 49 49 is_stmt 0               ; persistent_matmul.py:49:49
	v_cndmask_b32_e32 v28, 0, v28, vcc_lo
	.loc	1 57 49 is_stmt 1               ; persistent_matmul.py:57:49
	v_mul_lo_u32 v28, v28, s24
	scratch_store_b32 off, v28, off offset:468 ; 4-byte Folded Spill
	v_mov_b32_e32 v28, 0
	.loc	1 60 24                         ; persistent_matmul.py:60:24
	s_and_saveexec_b32 s9, s6
	s_cbranch_execz .LBB0_55
; %bb.54:
	.loc	1 57 61                         ; persistent_matmul.py:57:61
	scratch_load_b32 v29, off, off offset:468 ; 4-byte Folded Reload
	s_waitcnt vmcnt(0)
	v_add_nc_u32_e32 v31, v29, v35
	s_delay_alu instid0(VALU_DEP_1) | instskip(NEXT) | instid1(VALU_DEP_1)
	.loc	1 57 30 is_stmt 0               ; persistent_matmul.py:57:30
	v_ashrrev_i32_e32 v32, 31, v31
	v_lshlrev_b64 v[31:32], 1, v[31:32]
	s_delay_alu instid0(VALU_DEP_1) | instskip(NEXT) | instid1(VALU_DEP_1)
	v_add_co_u32 v31, vcc_lo, s26, v31
	v_add_co_ci_u32_e64 v32, null, s27, v32, vcc_lo
	.loc	1 60 24 is_stmt 1               ; persistent_matmul.py:60:24
	global_load_u16 v29, v[31:32], off
.LBB0_55:
	.loc	1 0 24 is_stmt 0                ; persistent_matmul.py:0:24
	s_or_b32 exec_lo, exec_lo, s9
	.loc	1 47 41 is_stmt 1               ; persistent_matmul.py:47:41
	v_or_b32_e32 v31, 0x6c, v36
	s_mul_i32 s8, s8, s33
	scratch_store_b32 off, v31, off offset:660 ; 4-byte Folded Spill
	.loc	1 47 28 is_stmt 0               ; persistent_matmul.py:47:28
	v_or_b32_e32 v31, s5, v31
	s_delay_alu instid0(VALU_DEP_1) | instskip(SKIP_1) | instid1(VALU_DEP_1)
	.loc	1 49 37 is_stmt 1               ; persistent_matmul.py:49:37
	v_cmp_gt_i32_e32 vcc_lo, s22, v31
	.loc	1 49 49 is_stmt 0               ; persistent_matmul.py:49:49
	v_cndmask_b32_e32 v31, 0, v31, vcc_lo
	.loc	1 57 49 is_stmt 1               ; persistent_matmul.py:57:49
	v_mul_lo_u32 v31, v31, s24
	scratch_store_b32 off, v31, off offset:472 ; 4-byte Folded Spill
	.loc	1 60 24                         ; persistent_matmul.py:60:24
	s_and_saveexec_b32 s9, s6
	s_cbranch_execz .LBB0_57
; %bb.56:
	.loc	1 57 61                         ; persistent_matmul.py:57:61
	scratch_load_b32 v28, off, off offset:472 ; 4-byte Folded Reload
	s_waitcnt vmcnt(0)
	v_add_nc_u32_e32 v31, v28, v35
	s_delay_alu instid0(VALU_DEP_1) | instskip(NEXT) | instid1(VALU_DEP_1)
	.loc	1 57 30 is_stmt 0               ; persistent_matmul.py:57:30
	v_ashrrev_i32_e32 v32, 31, v31
	v_lshlrev_b64 v[31:32], 1, v[31:32]
	s_delay_alu instid0(VALU_DEP_1) | instskip(NEXT) | instid1(VALU_DEP_1)
	v_add_co_u32 v31, vcc_lo, s26, v31
	v_add_co_ci_u32_e64 v32, null, s27, v32, vcc_lo
	.loc	1 60 24 is_stmt 1               ; persistent_matmul.py:60:24
	global_load_u16 v28, v[31:32], off
.LBB0_57:
	.loc	1 0 24 is_stmt 0                ; persistent_matmul.py:0:24
	s_or_b32 exec_lo, exec_lo, s9
	.loc	1 47 41 is_stmt 1               ; persistent_matmul.py:47:41
	v_or_b32_e32 v31, 0x70, v36
	s_sub_i32 s9, s15, s8
	v_mov_b32_e32 v32, 0
	scratch_store_b32 off, v31, off offset:664 ; 4-byte Folded Spill
	.loc	1 47 28 is_stmt 0               ; persistent_matmul.py:47:28
	v_or_b32_e32 v31, s5, v31
	s_delay_alu instid0(VALU_DEP_1) | instskip(SKIP_1) | instid1(VALU_DEP_1)
	.loc	1 49 37 is_stmt 1               ; persistent_matmul.py:49:37
	v_cmp_gt_i32_e32 vcc_lo, s22, v31
	.loc	1 49 49 is_stmt 0               ; persistent_matmul.py:49:49
	v_cndmask_b32_e32 v31, 0, v31, vcc_lo
	.loc	1 57 49 is_stmt 1               ; persistent_matmul.py:57:49
	v_mul_lo_u32 v31, v31, s24
	scratch_store_b32 off, v31, off offset:476 ; 4-byte Folded Spill
	v_mov_b32_e32 v31, 0
	.loc	1 60 24                         ; persistent_matmul.py:60:24
	s_and_saveexec_b32 s8, s6
	s_cbranch_execz .LBB0_59
; %bb.58:
	.loc	1 57 61                         ; persistent_matmul.py:57:61
	scratch_load_b32 v32, off, off offset:476 ; 4-byte Folded Reload
	s_waitcnt vmcnt(0)
	v_add_nc_u32_e32 v32, v32, v35
	s_delay_alu instid0(VALU_DEP_1) | instskip(NEXT) | instid1(VALU_DEP_1)
	.loc	1 57 30 is_stmt 0               ; persistent_matmul.py:57:30
	v_ashrrev_i32_e32 v33, 31, v32
	v_lshlrev_b64 v[32:33], 1, v[32:33]
	s_delay_alu instid0(VALU_DEP_1) | instskip(NEXT) | instid1(VALU_DEP_1)
	v_add_co_u32 v32, vcc_lo, s26, v32
	v_add_co_ci_u32_e64 v33, null, s27, v33, vcc_lo
	.loc	1 60 24 is_stmt 1               ; persistent_matmul.py:60:24
	global_load_u16 v32, v[32:33], off
.LBB0_59:
	.loc	1 0 24 is_stmt 0                ; persistent_matmul.py:0:24
	s_or_b32 exec_lo, exec_lo, s8
	.loc	1 47 41 is_stmt 1               ; persistent_matmul.py:47:41
	v_or_b32_e32 v33, 0x74, v36
	s_abs_i32 s8, s9
	scratch_store_b32 off, v33, off offset:668 ; 4-byte Folded Spill
	.loc	1 47 28 is_stmt 0               ; persistent_matmul.py:47:28
	v_or_b32_e32 v33, s5, v33
	s_delay_alu instid0(VALU_DEP_1) | instskip(SKIP_1) | instid1(VALU_DEP_1)
	.loc	1 49 37 is_stmt 1               ; persistent_matmul.py:49:37
	v_cmp_gt_i32_e32 vcc_lo, s22, v33
	.loc	1 49 49 is_stmt 0               ; persistent_matmul.py:49:49
	v_cndmask_b32_e32 v33, 0, v33, vcc_lo
	.loc	1 57 49 is_stmt 1               ; persistent_matmul.py:57:49
	v_mul_lo_u32 v33, v33, s24
	scratch_store_b32 off, v33, off offset:480 ; 4-byte Folded Spill
	.loc	1 60 24                         ; persistent_matmul.py:60:24
	s_and_saveexec_b32 s10, s6
	s_cbranch_execz .LBB0_61
; %bb.60:
	.loc	1 57 61                         ; persistent_matmul.py:57:61
	scratch_load_b32 v31, off, off offset:480 ; 4-byte Folded Reload
	s_waitcnt vmcnt(0)
	v_add_nc_u32_e32 v33, v31, v35
	s_delay_alu instid0(VALU_DEP_1) | instskip(NEXT) | instid1(VALU_DEP_1)
	.loc	1 57 30 is_stmt 0               ; persistent_matmul.py:57:30
	v_ashrrev_i32_e32 v34, 31, v33
	v_lshlrev_b64 v[33:34], 1, v[33:34]
	s_delay_alu instid0(VALU_DEP_1) | instskip(NEXT) | instid1(VALU_DEP_1)
	v_add_co_u32 v33, vcc_lo, s26, v33
	v_add_co_ci_u32_e64 v34, null, s27, v34, vcc_lo
	.loc	1 60 24 is_stmt 1               ; persistent_matmul.py:60:24
	global_load_u16 v31, v[33:34], off
.LBB0_61:
	.loc	1 0 24 is_stmt 0                ; persistent_matmul.py:0:24
	s_or_b32 exec_lo, exec_lo, s10
	.loc	1 47 41 is_stmt 1               ; persistent_matmul.py:47:41
	v_or_b32_e32 v33, 0x78, v36
	s_mul_hi_u32 s7, s8, s7
	v_mov_b32_e32 v34, 0
	scratch_store_b32 off, v33, off offset:672 ; 4-byte Folded Spill
	.loc	1 47 28 is_stmt 0               ; persistent_matmul.py:47:28
	v_or_b32_e32 v33, s5, v33
	s_delay_alu instid0(VALU_DEP_1) | instskip(SKIP_1) | instid1(VALU_DEP_1)
	.loc	1 49 37 is_stmt 1               ; persistent_matmul.py:49:37
	v_cmp_gt_i32_e32 vcc_lo, s22, v33
	.loc	1 49 49 is_stmt 0               ; persistent_matmul.py:49:49
	v_cndmask_b32_e32 v33, 0, v33, vcc_lo
	.loc	1 57 49 is_stmt 1               ; persistent_matmul.py:57:49
	v_mul_lo_u32 v33, v33, s24
	scratch_store_b32 off, v33, off offset:484 ; 4-byte Folded Spill
	v_mov_b32_e32 v33, 0
	.loc	1 60 24                         ; persistent_matmul.py:60:24
	s_and_saveexec_b32 s10, s6
	s_cbranch_execz .LBB0_63
; %bb.62:
	.loc	1 57 61                         ; persistent_matmul.py:57:61
	scratch_load_b32 v34, off, off offset:484 ; 4-byte Folded Reload
	v_mov_b32_e32 v38, v36
	s_waitcnt vmcnt(0)
	v_add_nc_u32_e32 v36, v34, v35
	s_delay_alu instid0(VALU_DEP_1) | instskip(NEXT) | instid1(VALU_DEP_1)
	.loc	1 57 30 is_stmt 0               ; persistent_matmul.py:57:30
	v_ashrrev_i32_e32 v37, 31, v36
	v_lshlrev_b64 v[36:37], 1, v[36:37]
	s_delay_alu instid0(VALU_DEP_1) | instskip(NEXT) | instid1(VALU_DEP_1)
	v_add_co_u32 v36, vcc_lo, s26, v36
	v_add_co_ci_u32_e64 v37, null, s27, v37, vcc_lo
	.loc	1 60 24 is_stmt 1               ; persistent_matmul.py:60:24
	global_load_u16 v34, v[36:37], off
	v_mov_b32_e32 v36, v38
.LBB0_63:
	.loc	1 0 24 is_stmt 0                ; persistent_matmul.py:0:24
	s_or_b32 exec_lo, exec_lo, s10
	scratch_store_b32 off, v36, off offset:552 ; 4-byte Folded Spill
	.loc	1 47 41 is_stmt 1               ; persistent_matmul.py:47:41
	v_or_b32_e32 v36, 0x7c, v36
	s_clause 0x1
	s_load_b64 s[28:29], s[0:1], 0x8
	s_load_b32 s41, s[0:1], 0x30
	s_ashr_i32 s4, s4, 31
	scratch_store_b32 off, v36, off offset:676 ; 4-byte Folded Spill
	.loc	1 47 28 is_stmt 0               ; persistent_matmul.py:47:28
	v_or_b32_e32 v36, s5, v36
	s_ashr_i32 s5, s9, 31
	s_delay_alu instid0(VALU_DEP_1) | instskip(SKIP_1) | instid1(VALU_DEP_1)
	.loc	1 49 37 is_stmt 1               ; persistent_matmul.py:49:37
	v_cmp_gt_i32_e32 vcc_lo, s22, v36
	.loc	1 49 49 is_stmt 0               ; persistent_matmul.py:49:49
	v_cndmask_b32_e32 v36, 0, v36, vcc_lo
	.loc	1 57 49 is_stmt 1               ; persistent_matmul.py:57:49
	v_mul_lo_u32 v36, v36, s24
	scratch_store_b32 off, v36, off offset:488 ; 4-byte Folded Spill
	.loc	1 60 24                         ; persistent_matmul.py:60:24
	s_and_saveexec_b32 s9, s6
	s_cbranch_execz .LBB0_65
; %bb.64:
	.loc	1 57 61                         ; persistent_matmul.py:57:61
	scratch_load_b32 v33, off, off offset:488 ; 4-byte Folded Reload
	s_waitcnt vmcnt(0)
	v_add_nc_u32_e32 v35, v33, v35
	s_delay_alu instid0(VALU_DEP_1) | instskip(NEXT) | instid1(VALU_DEP_1)
	.loc	1 57 30 is_stmt 0               ; persistent_matmul.py:57:30
	v_ashrrev_i32_e32 v36, 31, v35
	v_lshlrev_b64 v[35:36], 1, v[35:36]
	s_delay_alu instid0(VALU_DEP_1) | instskip(NEXT) | instid1(VALU_DEP_1)
	v_add_co_u32 v35, vcc_lo, s26, v35
	v_add_co_ci_u32_e64 v36, null, s27, v36, vcc_lo
	.loc	1 60 24 is_stmt 1               ; persistent_matmul.py:60:24
	global_load_u16 v33, v[35:36], off
.LBB0_65:
	.loc	1 0 24 is_stmt 0                ; persistent_matmul.py:0:24
	s_or_b32 exec_lo, exec_lo, s9
.Ltmp27:
	.loc	1 14 44 is_stmt 1               ; persistent_matmul.py:14:44 @[ persistent_matmul.py:44:88 ]
	s_mul_i32 s6, s7, s3
	s_xor_b32 s4, s5, s4
	s_sub_i32 s5, s8, s6
	s_add_i32 s6, s7, 1
	s_sub_i32 s8, s5, s3
	s_cmp_ge_u32 s5, s3
.Ltmp28:
	.loc	1 47 41                         ; persistent_matmul.py:47:41
	v_and_b32_e32 v35, 0x7f, v0
.Ltmp29:
	.loc	1 14 44                         ; persistent_matmul.py:14:44 @[ persistent_matmul.py:44:88 ]
	s_cselect_b32 s6, s6, s7
	s_cselect_b32 s5, s8, s5
	s_add_i32 s7, s6, 1
	s_cmp_ge_u32 s5, s3
.Ltmp30:
	.loc	1 40 35                         ; persistent_matmul.py:40:35
	v_lshrrev_b32_e32 v66, 7, v30
.Ltmp31:
	.loc	1 14 44                         ; persistent_matmul.py:14:44 @[ persistent_matmul.py:44:88 ]
	s_cselect_b32 s3, s7, s6
	v_mov_b32_e32 v30, 0
	s_xor_b32 s3, s3, s4
	scratch_store_b32 off, v35, off offset:680 ; 4-byte Folded Spill
	s_sub_i32 s3, s3, s4
	s_load_b32 s42, s[0:1], 0x2c
.Ltmp32:
	.loc	1 48 28                         ; persistent_matmul.py:48:28
	v_lshl_or_b32 v35, s3, 7, v35
	v_mov_b32_e32 v36, 0
	s_delay_alu instid0(VALU_DEP_2) | instskip(SKIP_3) | instid1(VALU_DEP_2)
	.loc	1 50 37                         ; persistent_matmul.py:50:37
	v_cmp_gt_i32_e32 vcc_lo, s23, v35
	.loc	1 50 49 is_stmt 0               ; persistent_matmul.py:50:49
	v_cndmask_b32_e32 v35, 0, v35, vcc_lo
	.loc	1 61 64 is_stmt 1               ; persistent_matmul.py:61:64
	v_cmp_gt_i32_e32 vcc_lo, s38, v66
	.loc	1 58 79                         ; persistent_matmul.py:58:79
	s_waitcnt lgkmcnt(0)
	v_mul_lo_u32 v200, v35, s41
	.loc	1 43 59                         ; persistent_matmul.py:43:59
	s_and_b32 s1, vcc_lo, s35
	s_delay_alu instid0(SALU_CYCLE_1)
	.loc	1 61 24                         ; persistent_matmul.py:61:24
	s_and_saveexec_b32 s0, s1
	s_cbranch_execz .LBB0_67
; %bb.66:
	.loc	1 0 24 is_stmt 0                ; persistent_matmul.py:0:24
	s_delay_alu instid0(VALU_DEP_1) | instskip(NEXT) | instid1(VALU_DEP_1)
	v_mad_u64_u32 v[35:36], null, s42, v66, v[200:201]
	v_ashrrev_i32_e32 v36, 31, v35
	s_delay_alu instid0(VALU_DEP_1) | instskip(NEXT) | instid1(VALU_DEP_1)
	v_lshlrev_b64 v[35:36], 1, v[35:36]
	v_add_co_u32 v35, vcc_lo, s28, v35
	s_delay_alu instid0(VALU_DEP_1)
	v_add_co_ci_u32_e64 v36, null, s29, v36, vcc_lo
	.loc	1 61 24                         ; persistent_matmul.py:61:24
	global_load_u16 v36, v[35:36], off
.LBB0_67:
	.loc	1 0 24                          ; persistent_matmul.py:0:24
	s_or_b32 exec_lo, exec_lo, s0
	.loc	1 40 35 is_stmt 1               ; persistent_matmul.py:40:35
	v_or_b32_e32 v35, 2, v66
	s_delay_alu instid0(VALU_DEP_1) | instskip(SKIP_2) | instid1(SALU_CYCLE_1)
	.loc	1 61 64                         ; persistent_matmul.py:61:64
	v_cmp_gt_i32_e32 vcc_lo, s38, v35
	scratch_store_b32 off, v35, off offset:164 ; 4-byte Folded Spill
	.loc	1 43 59                         ; persistent_matmul.py:43:59
	s_and_b32 s1, vcc_lo, s35
	.loc	1 61 24                         ; persistent_matmul.py:61:24
	s_and_saveexec_b32 s0, s1
	s_cbranch_execz .LBB0_69
; %bb.68:
	.loc	1 58 60                         ; persistent_matmul.py:58:60
	v_or_b32_e32 v30, 2, v66
	s_delay_alu instid0(VALU_DEP_1) | instskip(NEXT) | instid1(VALU_DEP_1)
	v_mad_u64_u32 v[37:38], null, s42, v30, v[200:201]
	.loc	1 58 30 is_stmt 0               ; persistent_matmul.py:58:30
	v_ashrrev_i32_e32 v38, 31, v37
	s_delay_alu instid0(VALU_DEP_1) | instskip(NEXT) | instid1(VALU_DEP_1)
	v_lshlrev_b64 v[37:38], 1, v[37:38]
	v_add_co_u32 v37, vcc_lo, s28, v37
	s_delay_alu instid0(VALU_DEP_1)
	v_add_co_ci_u32_e64 v38, null, s29, v38, vcc_lo
	.loc	1 61 24 is_stmt 1               ; persistent_matmul.py:61:24
	global_load_u16 v30, v[37:38], off
.LBB0_69:
	.loc	1 0 24 is_stmt 0                ; persistent_matmul.py:0:24
	s_or_b32 exec_lo, exec_lo, s0
	.loc	1 40 35 is_stmt 1               ; persistent_matmul.py:40:35
	v_or_b32_e32 v35, 4, v66
	v_mov_b32_e32 v37, 0
	s_delay_alu instid0(VALU_DEP_2) | instskip(SKIP_3) | instid1(SALU_CYCLE_1)
	.loc	1 61 64                         ; persistent_matmul.py:61:64
	v_cmp_gt_i32_e32 vcc_lo, s38, v35
	scratch_store_b32 off, v35, off offset:168 ; 4-byte Folded Spill
	v_mov_b32_e32 v35, 0
	.loc	1 43 59                         ; persistent_matmul.py:43:59
	s_and_b32 s1, vcc_lo, s35
	.loc	1 61 24                         ; persistent_matmul.py:61:24
	s_and_saveexec_b32 s0, s1
	s_cbranch_execz .LBB0_71
; %bb.70:
	.loc	1 58 60                         ; persistent_matmul.py:58:60
	v_or_b32_e32 v39, 4, v66
	s_delay_alu instid0(VALU_DEP_1) | instskip(NEXT) | instid1(VALU_DEP_1)
	v_mad_u64_u32 v[37:38], null, s42, v39, v[200:201]
	.loc	1 58 30 is_stmt 0               ; persistent_matmul.py:58:30
	v_ashrrev_i32_e32 v38, 31, v37
	s_delay_alu instid0(VALU_DEP_1) | instskip(NEXT) | instid1(VALU_DEP_1)
	v_lshlrev_b64 v[37:38], 1, v[37:38]
	v_add_co_u32 v37, vcc_lo, s28, v37
	s_delay_alu instid0(VALU_DEP_1)
	v_add_co_ci_u32_e64 v38, null, s29, v38, vcc_lo
	.loc	1 61 24 is_stmt 1               ; persistent_matmul.py:61:24
	global_load_u16 v37, v[37:38], off
.LBB0_71:
	.loc	1 0 24 is_stmt 0                ; persistent_matmul.py:0:24
	s_or_b32 exec_lo, exec_lo, s0
	.loc	1 40 35 is_stmt 1               ; persistent_matmul.py:40:35
	v_or_b32_e32 v38, 6, v66
	s_delay_alu instid0(VALU_DEP_1) | instskip(SKIP_2) | instid1(SALU_CYCLE_1)
	.loc	1 61 64                         ; persistent_matmul.py:61:64
	v_cmp_gt_i32_e32 vcc_lo, s38, v38
	scratch_store_b32 off, v38, off offset:172 ; 4-byte Folded Spill
	.loc	1 43 59                         ; persistent_matmul.py:43:59
	s_and_b32 s1, vcc_lo, s35
	.loc	1 61 24                         ; persistent_matmul.py:61:24
	s_and_saveexec_b32 s0, s1
	s_cbranch_execz .LBB0_73
; %bb.72:
	.loc	1 58 60                         ; persistent_matmul.py:58:60
	v_or_b32_e32 v35, 6, v66
	s_delay_alu instid0(VALU_DEP_1) | instskip(NEXT) | instid1(VALU_DEP_1)
	v_mad_u64_u32 v[38:39], null, s42, v35, v[200:201]
	.loc	1 58 30 is_stmt 0               ; persistent_matmul.py:58:30
	v_ashrrev_i32_e32 v39, 31, v38
	s_delay_alu instid0(VALU_DEP_1) | instskip(NEXT) | instid1(VALU_DEP_1)
	v_lshlrev_b64 v[38:39], 1, v[38:39]
	v_add_co_u32 v38, vcc_lo, s28, v38
	s_delay_alu instid0(VALU_DEP_1)
	v_add_co_ci_u32_e64 v39, null, s29, v39, vcc_lo
	.loc	1 61 24 is_stmt 1               ; persistent_matmul.py:61:24
	global_load_u16 v35, v[38:39], off
.LBB0_73:
	.loc	1 0 24 is_stmt 0                ; persistent_matmul.py:0:24
	s_or_b32 exec_lo, exec_lo, s0
	.loc	1 40 35 is_stmt 1               ; persistent_matmul.py:40:35
	v_or_b32_e32 v38, 8, v66
	v_mov_b32_e32 v39, 0
	s_delay_alu instid0(VALU_DEP_2) | instskip(SKIP_3) | instid1(SALU_CYCLE_1)
	.loc	1 61 64                         ; persistent_matmul.py:61:64
	v_cmp_gt_i32_e32 vcc_lo, s38, v38
	scratch_store_b32 off, v38, off offset:176 ; 4-byte Folded Spill
	v_mov_b32_e32 v38, 0
	.loc	1 43 59                         ; persistent_matmul.py:43:59
	s_and_b32 s1, vcc_lo, s35
	.loc	1 61 24                         ; persistent_matmul.py:61:24
	s_and_saveexec_b32 s0, s1
	s_cbranch_execz .LBB0_75
; %bb.74:
	.loc	1 58 60                         ; persistent_matmul.py:58:60
	v_or_b32_e32 v41, 8, v66
	s_delay_alu instid0(VALU_DEP_1) | instskip(NEXT) | instid1(VALU_DEP_1)
	v_mad_u64_u32 v[39:40], null, s42, v41, v[200:201]
	.loc	1 58 30 is_stmt 0               ; persistent_matmul.py:58:30
	v_ashrrev_i32_e32 v40, 31, v39
	s_delay_alu instid0(VALU_DEP_1) | instskip(NEXT) | instid1(VALU_DEP_1)
	v_lshlrev_b64 v[39:40], 1, v[39:40]
	v_add_co_u32 v39, vcc_lo, s28, v39
	s_delay_alu instid0(VALU_DEP_1)
	v_add_co_ci_u32_e64 v40, null, s29, v40, vcc_lo
	.loc	1 61 24 is_stmt 1               ; persistent_matmul.py:61:24
	global_load_u16 v39, v[39:40], off
.LBB0_75:
	.loc	1 0 24 is_stmt 0                ; persistent_matmul.py:0:24
	s_or_b32 exec_lo, exec_lo, s0
	.loc	1 40 35 is_stmt 1               ; persistent_matmul.py:40:35
	v_or_b32_e32 v40, 10, v66
	s_delay_alu instid0(VALU_DEP_1) | instskip(SKIP_2) | instid1(SALU_CYCLE_1)
	.loc	1 61 64                         ; persistent_matmul.py:61:64
	v_cmp_gt_i32_e32 vcc_lo, s38, v40
	scratch_store_b32 off, v40, off offset:180 ; 4-byte Folded Spill
	.loc	1 43 59                         ; persistent_matmul.py:43:59
	s_and_b32 s1, vcc_lo, s35
	.loc	1 61 24                         ; persistent_matmul.py:61:24
	s_and_saveexec_b32 s0, s1
	s_cbranch_execz .LBB0_77
; %bb.76:
	.loc	1 58 60                         ; persistent_matmul.py:58:60
	v_or_b32_e32 v38, 10, v66
	s_delay_alu instid0(VALU_DEP_1) | instskip(NEXT) | instid1(VALU_DEP_1)
	v_mad_u64_u32 v[40:41], null, s42, v38, v[200:201]
	.loc	1 58 30 is_stmt 0               ; persistent_matmul.py:58:30
	v_ashrrev_i32_e32 v41, 31, v40
	s_delay_alu instid0(VALU_DEP_1) | instskip(NEXT) | instid1(VALU_DEP_1)
	v_lshlrev_b64 v[40:41], 1, v[40:41]
	v_add_co_u32 v40, vcc_lo, s28, v40
	s_delay_alu instid0(VALU_DEP_1)
	v_add_co_ci_u32_e64 v41, null, s29, v41, vcc_lo
	.loc	1 61 24 is_stmt 1               ; persistent_matmul.py:61:24
	global_load_u16 v38, v[40:41], off
.LBB0_77:
	.loc	1 0 24 is_stmt 0                ; persistent_matmul.py:0:24
	s_or_b32 exec_lo, exec_lo, s0
	.loc	1 40 35 is_stmt 1               ; persistent_matmul.py:40:35
	v_or_b32_e32 v40, 12, v66
	v_mov_b32_e32 v41, 0
	s_delay_alu instid0(VALU_DEP_2) | instskip(SKIP_3) | instid1(SALU_CYCLE_1)
	.loc	1 61 64                         ; persistent_matmul.py:61:64
	v_cmp_gt_i32_e32 vcc_lo, s38, v40
	scratch_store_b32 off, v40, off offset:184 ; 4-byte Folded Spill
	v_mov_b32_e32 v40, 0
	.loc	1 43 59                         ; persistent_matmul.py:43:59
	s_and_b32 s1, vcc_lo, s35
	.loc	1 61 24                         ; persistent_matmul.py:61:24
	s_and_saveexec_b32 s0, s1
	s_cbranch_execz .LBB0_79
; %bb.78:
	.loc	1 58 60                         ; persistent_matmul.py:58:60
	v_or_b32_e32 v43, 12, v66
	s_delay_alu instid0(VALU_DEP_1) | instskip(NEXT) | instid1(VALU_DEP_1)
	v_mad_u64_u32 v[41:42], null, s42, v43, v[200:201]
	.loc	1 58 30 is_stmt 0               ; persistent_matmul.py:58:30
	v_ashrrev_i32_e32 v42, 31, v41
	s_delay_alu instid0(VALU_DEP_1) | instskip(NEXT) | instid1(VALU_DEP_1)
	v_lshlrev_b64 v[41:42], 1, v[41:42]
	v_add_co_u32 v41, vcc_lo, s28, v41
	s_delay_alu instid0(VALU_DEP_1)
	v_add_co_ci_u32_e64 v42, null, s29, v42, vcc_lo
	.loc	1 61 24 is_stmt 1               ; persistent_matmul.py:61:24
	global_load_u16 v41, v[41:42], off
.LBB0_79:
	.loc	1 0 24 is_stmt 0                ; persistent_matmul.py:0:24
	s_or_b32 exec_lo, exec_lo, s0
	.loc	1 40 35 is_stmt 1               ; persistent_matmul.py:40:35
	v_or_b32_e32 v42, 14, v66
	s_delay_alu instid0(VALU_DEP_1) | instskip(SKIP_2) | instid1(SALU_CYCLE_1)
	.loc	1 61 64                         ; persistent_matmul.py:61:64
	v_cmp_gt_i32_e32 vcc_lo, s38, v42
	scratch_store_b32 off, v42, off offset:188 ; 4-byte Folded Spill
	.loc	1 43 59                         ; persistent_matmul.py:43:59
	s_and_b32 s1, vcc_lo, s35
	.loc	1 61 24                         ; persistent_matmul.py:61:24
	s_and_saveexec_b32 s0, s1
	s_cbranch_execz .LBB0_81
; %bb.80:
	.loc	1 58 60                         ; persistent_matmul.py:58:60
	v_or_b32_e32 v40, 14, v66
	s_delay_alu instid0(VALU_DEP_1) | instskip(NEXT) | instid1(VALU_DEP_1)
	v_mad_u64_u32 v[42:43], null, s42, v40, v[200:201]
	.loc	1 58 30 is_stmt 0               ; persistent_matmul.py:58:30
	v_ashrrev_i32_e32 v43, 31, v42
	s_delay_alu instid0(VALU_DEP_1) | instskip(NEXT) | instid1(VALU_DEP_1)
	v_lshlrev_b64 v[42:43], 1, v[42:43]
	v_add_co_u32 v42, vcc_lo, s28, v42
	s_delay_alu instid0(VALU_DEP_1)
	v_add_co_ci_u32_e64 v43, null, s29, v43, vcc_lo
	.loc	1 61 24 is_stmt 1               ; persistent_matmul.py:61:24
	global_load_u16 v40, v[42:43], off
.LBB0_81:
	.loc	1 0 24 is_stmt 0                ; persistent_matmul.py:0:24
	s_or_b32 exec_lo, exec_lo, s0
	.loc	1 40 35 is_stmt 1               ; persistent_matmul.py:40:35
	v_or_b32_e32 v42, 16, v66
	v_mov_b32_e32 v43, 0
	s_delay_alu instid0(VALU_DEP_2) | instskip(SKIP_3) | instid1(SALU_CYCLE_1)
	.loc	1 61 64                         ; persistent_matmul.py:61:64
	v_cmp_gt_i32_e32 vcc_lo, s38, v42
	scratch_store_b32 off, v42, off offset:192 ; 4-byte Folded Spill
	v_mov_b32_e32 v42, 0
	.loc	1 43 59                         ; persistent_matmul.py:43:59
	s_and_b32 s1, vcc_lo, s35
	.loc	1 61 24                         ; persistent_matmul.py:61:24
	s_and_saveexec_b32 s0, s1
	s_cbranch_execz .LBB0_83
; %bb.82:
	.loc	1 58 60                         ; persistent_matmul.py:58:60
	v_or_b32_e32 v45, 16, v66
	s_delay_alu instid0(VALU_DEP_1) | instskip(NEXT) | instid1(VALU_DEP_1)
	v_mad_u64_u32 v[43:44], null, s42, v45, v[200:201]
	.loc	1 58 30 is_stmt 0               ; persistent_matmul.py:58:30
	v_ashrrev_i32_e32 v44, 31, v43
	s_delay_alu instid0(VALU_DEP_1) | instskip(NEXT) | instid1(VALU_DEP_1)
	v_lshlrev_b64 v[43:44], 1, v[43:44]
	v_add_co_u32 v43, vcc_lo, s28, v43
	s_delay_alu instid0(VALU_DEP_1)
	v_add_co_ci_u32_e64 v44, null, s29, v44, vcc_lo
	.loc	1 61 24 is_stmt 1               ; persistent_matmul.py:61:24
	global_load_u16 v43, v[43:44], off
.LBB0_83:
	.loc	1 0 24 is_stmt 0                ; persistent_matmul.py:0:24
	s_or_b32 exec_lo, exec_lo, s0
	.loc	1 40 35 is_stmt 1               ; persistent_matmul.py:40:35
	v_or_b32_e32 v44, 18, v66
	s_delay_alu instid0(VALU_DEP_1) | instskip(SKIP_2) | instid1(SALU_CYCLE_1)
	.loc	1 61 64                         ; persistent_matmul.py:61:64
	v_cmp_gt_i32_e32 vcc_lo, s38, v44
	scratch_store_b32 off, v44, off offset:196 ; 4-byte Folded Spill
	.loc	1 43 59                         ; persistent_matmul.py:43:59
	s_and_b32 s1, vcc_lo, s35
	.loc	1 61 24                         ; persistent_matmul.py:61:24
	s_and_saveexec_b32 s0, s1
	s_cbranch_execz .LBB0_85
; %bb.84:
	.loc	1 58 60                         ; persistent_matmul.py:58:60
	v_or_b32_e32 v42, 18, v66
	s_delay_alu instid0(VALU_DEP_1) | instskip(NEXT) | instid1(VALU_DEP_1)
	v_mad_u64_u32 v[44:45], null, s42, v42, v[200:201]
	.loc	1 58 30 is_stmt 0               ; persistent_matmul.py:58:30
	v_ashrrev_i32_e32 v45, 31, v44
	s_delay_alu instid0(VALU_DEP_1) | instskip(NEXT) | instid1(VALU_DEP_1)
	v_lshlrev_b64 v[44:45], 1, v[44:45]
	v_add_co_u32 v44, vcc_lo, s28, v44
	s_delay_alu instid0(VALU_DEP_1)
	v_add_co_ci_u32_e64 v45, null, s29, v45, vcc_lo
	.loc	1 61 24 is_stmt 1               ; persistent_matmul.py:61:24
	global_load_u16 v42, v[44:45], off
.LBB0_85:
	.loc	1 0 24 is_stmt 0                ; persistent_matmul.py:0:24
	s_or_b32 exec_lo, exec_lo, s0
	.loc	1 40 35 is_stmt 1               ; persistent_matmul.py:40:35
	v_or_b32_e32 v44, 20, v66
	v_mov_b32_e32 v45, 0
	s_delay_alu instid0(VALU_DEP_2) | instskip(SKIP_3) | instid1(SALU_CYCLE_1)
	.loc	1 61 64                         ; persistent_matmul.py:61:64
	v_cmp_gt_i32_e32 vcc_lo, s38, v44
	scratch_store_b32 off, v44, off offset:200 ; 4-byte Folded Spill
	v_mov_b32_e32 v44, 0
	.loc	1 43 59                         ; persistent_matmul.py:43:59
	s_and_b32 s1, vcc_lo, s35
	.loc	1 61 24                         ; persistent_matmul.py:61:24
	s_and_saveexec_b32 s0, s1
	s_cbranch_execz .LBB0_87
; %bb.86:
	.loc	1 58 60                         ; persistent_matmul.py:58:60
	v_or_b32_e32 v47, 20, v66
	s_delay_alu instid0(VALU_DEP_1) | instskip(NEXT) | instid1(VALU_DEP_1)
	v_mad_u64_u32 v[45:46], null, s42, v47, v[200:201]
	.loc	1 58 30 is_stmt 0               ; persistent_matmul.py:58:30
	v_ashrrev_i32_e32 v46, 31, v45
	s_delay_alu instid0(VALU_DEP_1) | instskip(NEXT) | instid1(VALU_DEP_1)
	v_lshlrev_b64 v[45:46], 1, v[45:46]
	v_add_co_u32 v45, vcc_lo, s28, v45
	s_delay_alu instid0(VALU_DEP_1)
	v_add_co_ci_u32_e64 v46, null, s29, v46, vcc_lo
	.loc	1 61 24 is_stmt 1               ; persistent_matmul.py:61:24
	global_load_u16 v45, v[45:46], off
.LBB0_87:
	.loc	1 0 24 is_stmt 0                ; persistent_matmul.py:0:24
	s_or_b32 exec_lo, exec_lo, s0
	.loc	1 40 35 is_stmt 1               ; persistent_matmul.py:40:35
	v_or_b32_e32 v46, 22, v66
	s_delay_alu instid0(VALU_DEP_1) | instskip(SKIP_2) | instid1(SALU_CYCLE_1)
	.loc	1 61 64                         ; persistent_matmul.py:61:64
	v_cmp_gt_i32_e32 vcc_lo, s38, v46
	scratch_store_b32 off, v46, off offset:204 ; 4-byte Folded Spill
	.loc	1 43 59                         ; persistent_matmul.py:43:59
	s_and_b32 s1, vcc_lo, s35
	.loc	1 61 24                         ; persistent_matmul.py:61:24
	s_and_saveexec_b32 s0, s1
	s_cbranch_execz .LBB0_89
; %bb.88:
	.loc	1 58 60                         ; persistent_matmul.py:58:60
	v_or_b32_e32 v44, 22, v66
	s_delay_alu instid0(VALU_DEP_1) | instskip(NEXT) | instid1(VALU_DEP_1)
	v_mad_u64_u32 v[46:47], null, s42, v44, v[200:201]
	.loc	1 58 30 is_stmt 0               ; persistent_matmul.py:58:30
	v_ashrrev_i32_e32 v47, 31, v46
	s_delay_alu instid0(VALU_DEP_1) | instskip(NEXT) | instid1(VALU_DEP_1)
	v_lshlrev_b64 v[46:47], 1, v[46:47]
	v_add_co_u32 v46, vcc_lo, s28, v46
	s_delay_alu instid0(VALU_DEP_1)
	v_add_co_ci_u32_e64 v47, null, s29, v47, vcc_lo
	.loc	1 61 24 is_stmt 1               ; persistent_matmul.py:61:24
	global_load_u16 v44, v[46:47], off
.LBB0_89:
	.loc	1 0 24 is_stmt 0                ; persistent_matmul.py:0:24
	s_or_b32 exec_lo, exec_lo, s0
	.loc	1 40 35 is_stmt 1               ; persistent_matmul.py:40:35
	v_or_b32_e32 v46, 24, v66
	v_mov_b32_e32 v47, 0
	s_delay_alu instid0(VALU_DEP_2) | instskip(SKIP_3) | instid1(SALU_CYCLE_1)
	.loc	1 61 64                         ; persistent_matmul.py:61:64
	v_cmp_gt_i32_e32 vcc_lo, s38, v46
	scratch_store_b32 off, v46, off offset:208 ; 4-byte Folded Spill
	v_mov_b32_e32 v46, 0
	.loc	1 43 59                         ; persistent_matmul.py:43:59
	s_and_b32 s1, vcc_lo, s35
	.loc	1 61 24                         ; persistent_matmul.py:61:24
	s_and_saveexec_b32 s0, s1
	s_cbranch_execz .LBB0_91
; %bb.90:
	.loc	1 58 60                         ; persistent_matmul.py:58:60
	v_or_b32_e32 v49, 24, v66
	s_delay_alu instid0(VALU_DEP_1) | instskip(NEXT) | instid1(VALU_DEP_1)
	v_mad_u64_u32 v[47:48], null, s42, v49, v[200:201]
	.loc	1 58 30 is_stmt 0               ; persistent_matmul.py:58:30
	v_ashrrev_i32_e32 v48, 31, v47
	s_delay_alu instid0(VALU_DEP_1) | instskip(NEXT) | instid1(VALU_DEP_1)
	v_lshlrev_b64 v[47:48], 1, v[47:48]
	v_add_co_u32 v47, vcc_lo, s28, v47
	s_delay_alu instid0(VALU_DEP_1)
	v_add_co_ci_u32_e64 v48, null, s29, v48, vcc_lo
	.loc	1 61 24 is_stmt 1               ; persistent_matmul.py:61:24
	global_load_u16 v47, v[47:48], off
.LBB0_91:
	.loc	1 0 24 is_stmt 0                ; persistent_matmul.py:0:24
	s_or_b32 exec_lo, exec_lo, s0
	.loc	1 40 35 is_stmt 1               ; persistent_matmul.py:40:35
	v_or_b32_e32 v48, 26, v66
	s_delay_alu instid0(VALU_DEP_1) | instskip(SKIP_2) | instid1(SALU_CYCLE_1)
	.loc	1 61 64                         ; persistent_matmul.py:61:64
	v_cmp_gt_i32_e32 vcc_lo, s38, v48
	scratch_store_b32 off, v48, off offset:212 ; 4-byte Folded Spill
	.loc	1 43 59                         ; persistent_matmul.py:43:59
	s_and_b32 s1, vcc_lo, s35
	.loc	1 61 24                         ; persistent_matmul.py:61:24
	s_and_saveexec_b32 s0, s1
	s_cbranch_execz .LBB0_93
; %bb.92:
	.loc	1 58 60                         ; persistent_matmul.py:58:60
	v_or_b32_e32 v46, 26, v66
	s_delay_alu instid0(VALU_DEP_1) | instskip(NEXT) | instid1(VALU_DEP_1)
	v_mad_u64_u32 v[48:49], null, s42, v46, v[200:201]
	.loc	1 58 30 is_stmt 0               ; persistent_matmul.py:58:30
	v_ashrrev_i32_e32 v49, 31, v48
	s_delay_alu instid0(VALU_DEP_1) | instskip(NEXT) | instid1(VALU_DEP_1)
	v_lshlrev_b64 v[48:49], 1, v[48:49]
	v_add_co_u32 v48, vcc_lo, s28, v48
	s_delay_alu instid0(VALU_DEP_1)
	v_add_co_ci_u32_e64 v49, null, s29, v49, vcc_lo
	.loc	1 61 24 is_stmt 1               ; persistent_matmul.py:61:24
	global_load_u16 v46, v[48:49], off
.LBB0_93:
	.loc	1 0 24 is_stmt 0                ; persistent_matmul.py:0:24
	s_or_b32 exec_lo, exec_lo, s0
	.loc	1 40 35 is_stmt 1               ; persistent_matmul.py:40:35
	v_or_b32_e32 v48, 28, v66
	v_mov_b32_e32 v49, 0
	s_delay_alu instid0(VALU_DEP_2) | instskip(SKIP_3) | instid1(SALU_CYCLE_1)
	.loc	1 61 64                         ; persistent_matmul.py:61:64
	v_cmp_gt_i32_e32 vcc_lo, s38, v48
	scratch_store_b32 off, v48, off offset:216 ; 4-byte Folded Spill
	v_mov_b32_e32 v48, 0
	.loc	1 43 59                         ; persistent_matmul.py:43:59
	s_and_b32 s1, vcc_lo, s35
	.loc	1 61 24                         ; persistent_matmul.py:61:24
	s_and_saveexec_b32 s0, s1
	s_cbranch_execz .LBB0_95
; %bb.94:
	.loc	1 58 60                         ; persistent_matmul.py:58:60
	v_or_b32_e32 v51, 28, v66
	s_delay_alu instid0(VALU_DEP_1) | instskip(NEXT) | instid1(VALU_DEP_1)
	v_mad_u64_u32 v[49:50], null, s42, v51, v[200:201]
	.loc	1 58 30 is_stmt 0               ; persistent_matmul.py:58:30
	v_ashrrev_i32_e32 v50, 31, v49
	s_delay_alu instid0(VALU_DEP_1) | instskip(NEXT) | instid1(VALU_DEP_1)
	v_lshlrev_b64 v[49:50], 1, v[49:50]
	v_add_co_u32 v49, vcc_lo, s28, v49
	s_delay_alu instid0(VALU_DEP_1)
	v_add_co_ci_u32_e64 v50, null, s29, v50, vcc_lo
	.loc	1 61 24 is_stmt 1               ; persistent_matmul.py:61:24
	global_load_u16 v49, v[49:50], off
.LBB0_95:
	.loc	1 0 24 is_stmt 0                ; persistent_matmul.py:0:24
	s_or_b32 exec_lo, exec_lo, s0
	.loc	1 40 35 is_stmt 1               ; persistent_matmul.py:40:35
	v_or_b32_e32 v50, 30, v66
	s_delay_alu instid0(VALU_DEP_1) | instskip(SKIP_2) | instid1(SALU_CYCLE_1)
	.loc	1 61 64                         ; persistent_matmul.py:61:64
	v_cmp_gt_i32_e32 vcc_lo, s38, v50
	scratch_store_b32 off, v50, off offset:220 ; 4-byte Folded Spill
	.loc	1 43 59                         ; persistent_matmul.py:43:59
	s_and_b32 s1, vcc_lo, s35
	.loc	1 61 24                         ; persistent_matmul.py:61:24
	s_and_saveexec_b32 s0, s1
	s_cbranch_execz .LBB0_97
; %bb.96:
	.loc	1 58 60                         ; persistent_matmul.py:58:60
	v_or_b32_e32 v48, 30, v66
	s_delay_alu instid0(VALU_DEP_1) | instskip(NEXT) | instid1(VALU_DEP_1)
	v_mad_u64_u32 v[50:51], null, s42, v48, v[200:201]
	.loc	1 58 30 is_stmt 0               ; persistent_matmul.py:58:30
	v_ashrrev_i32_e32 v51, 31, v50
	s_delay_alu instid0(VALU_DEP_1) | instskip(NEXT) | instid1(VALU_DEP_1)
	v_lshlrev_b64 v[50:51], 1, v[50:51]
	v_add_co_u32 v50, vcc_lo, s28, v50
	s_delay_alu instid0(VALU_DEP_1)
	v_add_co_ci_u32_e64 v51, null, s29, v51, vcc_lo
	.loc	1 61 24 is_stmt 1               ; persistent_matmul.py:61:24
	global_load_u16 v48, v[50:51], off
.LBB0_97:
	.loc	1 0 24 is_stmt 0                ; persistent_matmul.py:0:24
	s_or_b32 exec_lo, exec_lo, s0
	.loc	1 40 35 is_stmt 1               ; persistent_matmul.py:40:35
	v_or_b32_e32 v50, 32, v66
	v_mov_b32_e32 v51, 0
	s_delay_alu instid0(VALU_DEP_2) | instskip(SKIP_3) | instid1(SALU_CYCLE_1)
	.loc	1 61 64                         ; persistent_matmul.py:61:64
	v_cmp_gt_i32_e32 vcc_lo, s38, v50
	scratch_store_b32 off, v50, off offset:224 ; 4-byte Folded Spill
	v_mov_b32_e32 v50, 0
	.loc	1 43 59                         ; persistent_matmul.py:43:59
	s_and_b32 s1, vcc_lo, s35
	.loc	1 61 24                         ; persistent_matmul.py:61:24
	s_and_saveexec_b32 s0, s1
	s_cbranch_execz .LBB0_99
; %bb.98:
	.loc	1 58 60                         ; persistent_matmul.py:58:60
	v_or_b32_e32 v53, 32, v66
	s_delay_alu instid0(VALU_DEP_1) | instskip(NEXT) | instid1(VALU_DEP_1)
	v_mad_u64_u32 v[51:52], null, s42, v53, v[200:201]
	.loc	1 58 30 is_stmt 0               ; persistent_matmul.py:58:30
	v_ashrrev_i32_e32 v52, 31, v51
	s_delay_alu instid0(VALU_DEP_1) | instskip(NEXT) | instid1(VALU_DEP_1)
	v_lshlrev_b64 v[51:52], 1, v[51:52]
	v_add_co_u32 v51, vcc_lo, s28, v51
	s_delay_alu instid0(VALU_DEP_1)
	v_add_co_ci_u32_e64 v52, null, s29, v52, vcc_lo
	.loc	1 61 24 is_stmt 1               ; persistent_matmul.py:61:24
	global_load_u16 v51, v[51:52], off
.LBB0_99:
	.loc	1 0 24 is_stmt 0                ; persistent_matmul.py:0:24
	s_or_b32 exec_lo, exec_lo, s0
	.loc	1 40 35 is_stmt 1               ; persistent_matmul.py:40:35
	v_or_b32_e32 v52, 34, v66
	s_delay_alu instid0(VALU_DEP_1) | instskip(SKIP_2) | instid1(SALU_CYCLE_1)
	.loc	1 61 64                         ; persistent_matmul.py:61:64
	v_cmp_gt_i32_e32 vcc_lo, s38, v52
	scratch_store_b32 off, v52, off offset:228 ; 4-byte Folded Spill
	.loc	1 43 59                         ; persistent_matmul.py:43:59
	s_and_b32 s1, vcc_lo, s35
	.loc	1 61 24                         ; persistent_matmul.py:61:24
	s_and_saveexec_b32 s0, s1
	s_cbranch_execz .LBB0_101
; %bb.100:
	.loc	1 58 60                         ; persistent_matmul.py:58:60
	v_or_b32_e32 v50, 34, v66
	s_delay_alu instid0(VALU_DEP_1) | instskip(NEXT) | instid1(VALU_DEP_1)
	v_mad_u64_u32 v[52:53], null, s42, v50, v[200:201]
	.loc	1 58 30 is_stmt 0               ; persistent_matmul.py:58:30
	v_ashrrev_i32_e32 v53, 31, v52
	s_delay_alu instid0(VALU_DEP_1) | instskip(NEXT) | instid1(VALU_DEP_1)
	v_lshlrev_b64 v[52:53], 1, v[52:53]
	v_add_co_u32 v52, vcc_lo, s28, v52
	s_delay_alu instid0(VALU_DEP_1)
	v_add_co_ci_u32_e64 v53, null, s29, v53, vcc_lo
	.loc	1 61 24 is_stmt 1               ; persistent_matmul.py:61:24
	global_load_u16 v50, v[52:53], off
.LBB0_101:
	.loc	1 0 24 is_stmt 0                ; persistent_matmul.py:0:24
	s_or_b32 exec_lo, exec_lo, s0
	.loc	1 40 35 is_stmt 1               ; persistent_matmul.py:40:35
	v_or_b32_e32 v52, 36, v66
	v_mov_b32_e32 v53, 0
	s_delay_alu instid0(VALU_DEP_2) | instskip(SKIP_3) | instid1(SALU_CYCLE_1)
	.loc	1 61 64                         ; persistent_matmul.py:61:64
	v_cmp_gt_i32_e32 vcc_lo, s38, v52
	scratch_store_b32 off, v52, off offset:232 ; 4-byte Folded Spill
	v_mov_b32_e32 v52, 0
	.loc	1 43 59                         ; persistent_matmul.py:43:59
	s_and_b32 s1, vcc_lo, s35
	.loc	1 61 24                         ; persistent_matmul.py:61:24
	s_and_saveexec_b32 s0, s1
	s_cbranch_execz .LBB0_103
; %bb.102:
	.loc	1 58 60                         ; persistent_matmul.py:58:60
	v_or_b32_e32 v55, 36, v66
	s_delay_alu instid0(VALU_DEP_1) | instskip(NEXT) | instid1(VALU_DEP_1)
	v_mad_u64_u32 v[53:54], null, s42, v55, v[200:201]
	.loc	1 58 30 is_stmt 0               ; persistent_matmul.py:58:30
	v_ashrrev_i32_e32 v54, 31, v53
	s_delay_alu instid0(VALU_DEP_1) | instskip(NEXT) | instid1(VALU_DEP_1)
	v_lshlrev_b64 v[53:54], 1, v[53:54]
	v_add_co_u32 v53, vcc_lo, s28, v53
	s_delay_alu instid0(VALU_DEP_1)
	v_add_co_ci_u32_e64 v54, null, s29, v54, vcc_lo
	.loc	1 61 24 is_stmt 1               ; persistent_matmul.py:61:24
	global_load_u16 v53, v[53:54], off
.LBB0_103:
	.loc	1 0 24 is_stmt 0                ; persistent_matmul.py:0:24
	s_or_b32 exec_lo, exec_lo, s0
	.loc	1 40 35 is_stmt 1               ; persistent_matmul.py:40:35
	v_or_b32_e32 v54, 38, v66
	s_delay_alu instid0(VALU_DEP_1) | instskip(SKIP_2) | instid1(SALU_CYCLE_1)
	.loc	1 61 64                         ; persistent_matmul.py:61:64
	v_cmp_gt_i32_e32 vcc_lo, s38, v54
	scratch_store_b32 off, v54, off offset:236 ; 4-byte Folded Spill
	.loc	1 43 59                         ; persistent_matmul.py:43:59
	s_and_b32 s1, vcc_lo, s35
	.loc	1 61 24                         ; persistent_matmul.py:61:24
	s_and_saveexec_b32 s0, s1
	s_cbranch_execz .LBB0_105
; %bb.104:
	.loc	1 58 60                         ; persistent_matmul.py:58:60
	v_or_b32_e32 v52, 38, v66
	s_delay_alu instid0(VALU_DEP_1) | instskip(NEXT) | instid1(VALU_DEP_1)
	v_mad_u64_u32 v[54:55], null, s42, v52, v[200:201]
	.loc	1 58 30 is_stmt 0               ; persistent_matmul.py:58:30
	v_ashrrev_i32_e32 v55, 31, v54
	s_delay_alu instid0(VALU_DEP_1) | instskip(NEXT) | instid1(VALU_DEP_1)
	v_lshlrev_b64 v[54:55], 1, v[54:55]
	v_add_co_u32 v54, vcc_lo, s28, v54
	s_delay_alu instid0(VALU_DEP_1)
	v_add_co_ci_u32_e64 v55, null, s29, v55, vcc_lo
	.loc	1 61 24 is_stmt 1               ; persistent_matmul.py:61:24
	global_load_u16 v52, v[54:55], off
.LBB0_105:
	.loc	1 0 24 is_stmt 0                ; persistent_matmul.py:0:24
	s_or_b32 exec_lo, exec_lo, s0
	.loc	1 40 35 is_stmt 1               ; persistent_matmul.py:40:35
	v_or_b32_e32 v54, 40, v66
	v_mov_b32_e32 v55, 0
	s_delay_alu instid0(VALU_DEP_2) | instskip(SKIP_3) | instid1(SALU_CYCLE_1)
	.loc	1 61 64                         ; persistent_matmul.py:61:64
	v_cmp_gt_i32_e32 vcc_lo, s38, v54
	scratch_store_b32 off, v54, off offset:240 ; 4-byte Folded Spill
	v_mov_b32_e32 v54, 0
	.loc	1 43 59                         ; persistent_matmul.py:43:59
	s_and_b32 s1, vcc_lo, s35
	.loc	1 61 24                         ; persistent_matmul.py:61:24
	s_and_saveexec_b32 s0, s1
	s_cbranch_execz .LBB0_107
; %bb.106:
	.loc	1 58 60                         ; persistent_matmul.py:58:60
	v_or_b32_e32 v57, 40, v66
	s_delay_alu instid0(VALU_DEP_1) | instskip(NEXT) | instid1(VALU_DEP_1)
	v_mad_u64_u32 v[55:56], null, s42, v57, v[200:201]
	.loc	1 58 30 is_stmt 0               ; persistent_matmul.py:58:30
	v_ashrrev_i32_e32 v56, 31, v55
	s_delay_alu instid0(VALU_DEP_1) | instskip(NEXT) | instid1(VALU_DEP_1)
	v_lshlrev_b64 v[55:56], 1, v[55:56]
	v_add_co_u32 v55, vcc_lo, s28, v55
	s_delay_alu instid0(VALU_DEP_1)
	v_add_co_ci_u32_e64 v56, null, s29, v56, vcc_lo
	.loc	1 61 24 is_stmt 1               ; persistent_matmul.py:61:24
	global_load_u16 v55, v[55:56], off
.LBB0_107:
	.loc	1 0 24 is_stmt 0                ; persistent_matmul.py:0:24
	s_or_b32 exec_lo, exec_lo, s0
	.loc	1 40 35 is_stmt 1               ; persistent_matmul.py:40:35
	v_or_b32_e32 v56, 42, v66
	s_delay_alu instid0(VALU_DEP_1) | instskip(SKIP_2) | instid1(SALU_CYCLE_1)
	.loc	1 61 64                         ; persistent_matmul.py:61:64
	v_cmp_gt_i32_e32 vcc_lo, s38, v56
	scratch_store_b32 off, v56, off offset:244 ; 4-byte Folded Spill
	.loc	1 43 59                         ; persistent_matmul.py:43:59
	s_and_b32 s1, vcc_lo, s35
	.loc	1 61 24                         ; persistent_matmul.py:61:24
	s_and_saveexec_b32 s0, s1
	s_cbranch_execz .LBB0_109
; %bb.108:
	.loc	1 58 60                         ; persistent_matmul.py:58:60
	v_or_b32_e32 v54, 42, v66
	s_delay_alu instid0(VALU_DEP_1) | instskip(NEXT) | instid1(VALU_DEP_1)
	v_mad_u64_u32 v[56:57], null, s42, v54, v[200:201]
	.loc	1 58 30 is_stmt 0               ; persistent_matmul.py:58:30
	v_ashrrev_i32_e32 v57, 31, v56
	s_delay_alu instid0(VALU_DEP_1) | instskip(NEXT) | instid1(VALU_DEP_1)
	v_lshlrev_b64 v[56:57], 1, v[56:57]
	v_add_co_u32 v56, vcc_lo, s28, v56
	s_delay_alu instid0(VALU_DEP_1)
	v_add_co_ci_u32_e64 v57, null, s29, v57, vcc_lo
	.loc	1 61 24 is_stmt 1               ; persistent_matmul.py:61:24
	global_load_u16 v54, v[56:57], off
.LBB0_109:
	.loc	1 0 24 is_stmt 0                ; persistent_matmul.py:0:24
	s_or_b32 exec_lo, exec_lo, s0
	.loc	1 40 35 is_stmt 1               ; persistent_matmul.py:40:35
	v_or_b32_e32 v56, 44, v66
	v_mov_b32_e32 v57, 0
	s_delay_alu instid0(VALU_DEP_2) | instskip(SKIP_3) | instid1(SALU_CYCLE_1)
	.loc	1 61 64                         ; persistent_matmul.py:61:64
	v_cmp_gt_i32_e32 vcc_lo, s38, v56
	scratch_store_b32 off, v56, off offset:248 ; 4-byte Folded Spill
	v_mov_b32_e32 v56, 0
	.loc	1 43 59                         ; persistent_matmul.py:43:59
	s_and_b32 s1, vcc_lo, s35
	.loc	1 61 24                         ; persistent_matmul.py:61:24
	s_and_saveexec_b32 s0, s1
	s_cbranch_execz .LBB0_111
; %bb.110:
	.loc	1 58 60                         ; persistent_matmul.py:58:60
	v_or_b32_e32 v59, 44, v66
	s_delay_alu instid0(VALU_DEP_1) | instskip(NEXT) | instid1(VALU_DEP_1)
	v_mad_u64_u32 v[57:58], null, s42, v59, v[200:201]
	.loc	1 58 30 is_stmt 0               ; persistent_matmul.py:58:30
	v_ashrrev_i32_e32 v58, 31, v57
	s_delay_alu instid0(VALU_DEP_1) | instskip(NEXT) | instid1(VALU_DEP_1)
	v_lshlrev_b64 v[57:58], 1, v[57:58]
	v_add_co_u32 v57, vcc_lo, s28, v57
	s_delay_alu instid0(VALU_DEP_1)
	v_add_co_ci_u32_e64 v58, null, s29, v58, vcc_lo
	.loc	1 61 24 is_stmt 1               ; persistent_matmul.py:61:24
	global_load_u16 v57, v[57:58], off
.LBB0_111:
	.loc	1 0 24 is_stmt 0                ; persistent_matmul.py:0:24
	s_or_b32 exec_lo, exec_lo, s0
	.loc	1 40 35 is_stmt 1               ; persistent_matmul.py:40:35
	v_or_b32_e32 v58, 46, v66
	s_delay_alu instid0(VALU_DEP_1) | instskip(SKIP_2) | instid1(SALU_CYCLE_1)
	.loc	1 61 64                         ; persistent_matmul.py:61:64
	v_cmp_gt_i32_e32 vcc_lo, s38, v58
	scratch_store_b32 off, v58, off offset:252 ; 4-byte Folded Spill
	.loc	1 43 59                         ; persistent_matmul.py:43:59
	s_and_b32 s1, vcc_lo, s35
	.loc	1 61 24                         ; persistent_matmul.py:61:24
	s_and_saveexec_b32 s0, s1
	s_cbranch_execz .LBB0_113
; %bb.112:
	.loc	1 58 60                         ; persistent_matmul.py:58:60
	v_or_b32_e32 v56, 46, v66
	s_delay_alu instid0(VALU_DEP_1) | instskip(NEXT) | instid1(VALU_DEP_1)
	v_mad_u64_u32 v[58:59], null, s42, v56, v[200:201]
	.loc	1 58 30 is_stmt 0               ; persistent_matmul.py:58:30
	v_ashrrev_i32_e32 v59, 31, v58
	s_delay_alu instid0(VALU_DEP_1) | instskip(NEXT) | instid1(VALU_DEP_1)
	v_lshlrev_b64 v[58:59], 1, v[58:59]
	v_add_co_u32 v58, vcc_lo, s28, v58
	s_delay_alu instid0(VALU_DEP_1)
	v_add_co_ci_u32_e64 v59, null, s29, v59, vcc_lo
	.loc	1 61 24 is_stmt 1               ; persistent_matmul.py:61:24
	global_load_u16 v56, v[58:59], off
.LBB0_113:
	.loc	1 0 24 is_stmt 0                ; persistent_matmul.py:0:24
	s_or_b32 exec_lo, exec_lo, s0
	.loc	1 40 35 is_stmt 1               ; persistent_matmul.py:40:35
	v_or_b32_e32 v58, 48, v66
	v_mov_b32_e32 v59, 0
	s_delay_alu instid0(VALU_DEP_2) | instskip(SKIP_3) | instid1(SALU_CYCLE_1)
	.loc	1 61 64                         ; persistent_matmul.py:61:64
	v_cmp_gt_i32_e32 vcc_lo, s38, v58
	scratch_store_b32 off, v58, off offset:256 ; 4-byte Folded Spill
	v_mov_b32_e32 v58, 0
	.loc	1 43 59                         ; persistent_matmul.py:43:59
	s_and_b32 s1, vcc_lo, s35
	.loc	1 61 24                         ; persistent_matmul.py:61:24
	s_and_saveexec_b32 s0, s1
	s_cbranch_execz .LBB0_115
; %bb.114:
	.loc	1 58 60                         ; persistent_matmul.py:58:60
	v_or_b32_e32 v61, 48, v66
	s_delay_alu instid0(VALU_DEP_1) | instskip(NEXT) | instid1(VALU_DEP_1)
	v_mad_u64_u32 v[59:60], null, s42, v61, v[200:201]
	.loc	1 58 30 is_stmt 0               ; persistent_matmul.py:58:30
	v_ashrrev_i32_e32 v60, 31, v59
	s_delay_alu instid0(VALU_DEP_1) | instskip(NEXT) | instid1(VALU_DEP_1)
	v_lshlrev_b64 v[59:60], 1, v[59:60]
	v_add_co_u32 v59, vcc_lo, s28, v59
	s_delay_alu instid0(VALU_DEP_1)
	v_add_co_ci_u32_e64 v60, null, s29, v60, vcc_lo
	.loc	1 61 24 is_stmt 1               ; persistent_matmul.py:61:24
	global_load_u16 v59, v[59:60], off
.LBB0_115:
	.loc	1 0 24 is_stmt 0                ; persistent_matmul.py:0:24
	s_or_b32 exec_lo, exec_lo, s0
	.loc	1 40 35 is_stmt 1               ; persistent_matmul.py:40:35
	v_or_b32_e32 v60, 50, v66
	s_delay_alu instid0(VALU_DEP_1) | instskip(SKIP_2) | instid1(SALU_CYCLE_1)
	.loc	1 61 64                         ; persistent_matmul.py:61:64
	v_cmp_gt_i32_e32 vcc_lo, s38, v60
	scratch_store_b32 off, v60, off offset:260 ; 4-byte Folded Spill
	.loc	1 43 59                         ; persistent_matmul.py:43:59
	s_and_b32 s1, vcc_lo, s35
	.loc	1 61 24                         ; persistent_matmul.py:61:24
	s_and_saveexec_b32 s0, s1
	s_cbranch_execz .LBB0_117
; %bb.116:
	.loc	1 58 60                         ; persistent_matmul.py:58:60
	v_or_b32_e32 v58, 50, v66
	s_delay_alu instid0(VALU_DEP_1) | instskip(NEXT) | instid1(VALU_DEP_1)
	v_mad_u64_u32 v[60:61], null, s42, v58, v[200:201]
	.loc	1 58 30 is_stmt 0               ; persistent_matmul.py:58:30
	v_ashrrev_i32_e32 v61, 31, v60
	s_delay_alu instid0(VALU_DEP_1) | instskip(NEXT) | instid1(VALU_DEP_1)
	v_lshlrev_b64 v[60:61], 1, v[60:61]
	v_add_co_u32 v60, vcc_lo, s28, v60
	s_delay_alu instid0(VALU_DEP_1)
	v_add_co_ci_u32_e64 v61, null, s29, v61, vcc_lo
	.loc	1 61 24 is_stmt 1               ; persistent_matmul.py:61:24
	global_load_u16 v58, v[60:61], off
.LBB0_117:
	.loc	1 0 24 is_stmt 0                ; persistent_matmul.py:0:24
	s_or_b32 exec_lo, exec_lo, s0
	.loc	1 40 35 is_stmt 1               ; persistent_matmul.py:40:35
	v_or_b32_e32 v60, 52, v66
	v_mov_b32_e32 v61, 0
	s_delay_alu instid0(VALU_DEP_2) | instskip(SKIP_3) | instid1(SALU_CYCLE_1)
	.loc	1 61 64                         ; persistent_matmul.py:61:64
	v_cmp_gt_i32_e32 vcc_lo, s38, v60
	scratch_store_b32 off, v60, off offset:264 ; 4-byte Folded Spill
	v_mov_b32_e32 v60, 0
	.loc	1 43 59                         ; persistent_matmul.py:43:59
	s_and_b32 s1, vcc_lo, s35
	.loc	1 61 24                         ; persistent_matmul.py:61:24
	s_and_saveexec_b32 s0, s1
	s_cbranch_execz .LBB0_119
; %bb.118:
	.loc	1 58 60                         ; persistent_matmul.py:58:60
	v_or_b32_e32 v63, 52, v66
	s_delay_alu instid0(VALU_DEP_1) | instskip(NEXT) | instid1(VALU_DEP_1)
	v_mad_u64_u32 v[61:62], null, s42, v63, v[200:201]
	.loc	1 58 30 is_stmt 0               ; persistent_matmul.py:58:30
	v_ashrrev_i32_e32 v62, 31, v61
	s_delay_alu instid0(VALU_DEP_1) | instskip(NEXT) | instid1(VALU_DEP_1)
	v_lshlrev_b64 v[61:62], 1, v[61:62]
	v_add_co_u32 v61, vcc_lo, s28, v61
	s_delay_alu instid0(VALU_DEP_1)
	v_add_co_ci_u32_e64 v62, null, s29, v62, vcc_lo
	.loc	1 61 24 is_stmt 1               ; persistent_matmul.py:61:24
	global_load_u16 v61, v[61:62], off
.LBB0_119:
	.loc	1 0 24 is_stmt 0                ; persistent_matmul.py:0:24
	s_or_b32 exec_lo, exec_lo, s0
	.loc	1 40 35 is_stmt 1               ; persistent_matmul.py:40:35
	v_or_b32_e32 v62, 54, v66
	s_delay_alu instid0(VALU_DEP_1) | instskip(SKIP_2) | instid1(SALU_CYCLE_1)
	.loc	1 61 64                         ; persistent_matmul.py:61:64
	v_cmp_gt_i32_e32 vcc_lo, s38, v62
	scratch_store_b32 off, v62, off offset:268 ; 4-byte Folded Spill
	.loc	1 43 59                         ; persistent_matmul.py:43:59
	s_and_b32 s1, vcc_lo, s35
	.loc	1 61 24                         ; persistent_matmul.py:61:24
	s_and_saveexec_b32 s0, s1
	s_cbranch_execz .LBB0_121
; %bb.120:
	.loc	1 58 60                         ; persistent_matmul.py:58:60
	v_or_b32_e32 v60, 54, v66
	s_delay_alu instid0(VALU_DEP_1) | instskip(NEXT) | instid1(VALU_DEP_1)
	v_mad_u64_u32 v[62:63], null, s42, v60, v[200:201]
	.loc	1 58 30 is_stmt 0               ; persistent_matmul.py:58:30
	v_ashrrev_i32_e32 v63, 31, v62
	s_delay_alu instid0(VALU_DEP_1) | instskip(NEXT) | instid1(VALU_DEP_1)
	v_lshlrev_b64 v[62:63], 1, v[62:63]
	v_add_co_u32 v62, vcc_lo, s28, v62
	s_delay_alu instid0(VALU_DEP_1)
	v_add_co_ci_u32_e64 v63, null, s29, v63, vcc_lo
	.loc	1 61 24 is_stmt 1               ; persistent_matmul.py:61:24
	global_load_u16 v60, v[62:63], off
.LBB0_121:
	.loc	1 0 24 is_stmt 0                ; persistent_matmul.py:0:24
	s_or_b32 exec_lo, exec_lo, s0
	.loc	1 40 35 is_stmt 1               ; persistent_matmul.py:40:35
	v_or_b32_e32 v62, 56, v66
	v_mov_b32_e32 v63, 0
	s_delay_alu instid0(VALU_DEP_2) | instskip(SKIP_3) | instid1(SALU_CYCLE_1)
	.loc	1 61 64                         ; persistent_matmul.py:61:64
	v_cmp_gt_i32_e32 vcc_lo, s38, v62
	scratch_store_b32 off, v62, off offset:272 ; 4-byte Folded Spill
	v_mov_b32_e32 v62, 0
	.loc	1 43 59                         ; persistent_matmul.py:43:59
	s_and_b32 s1, vcc_lo, s35
	.loc	1 61 24                         ; persistent_matmul.py:61:24
	s_and_saveexec_b32 s0, s1
	s_cbranch_execz .LBB0_123
; %bb.122:
	.loc	1 58 60                         ; persistent_matmul.py:58:60
	v_or_b32_e32 v65, 56, v66
	s_delay_alu instid0(VALU_DEP_1) | instskip(NEXT) | instid1(VALU_DEP_1)
	v_mad_u64_u32 v[63:64], null, s42, v65, v[200:201]
	.loc	1 58 30 is_stmt 0               ; persistent_matmul.py:58:30
	v_ashrrev_i32_e32 v64, 31, v63
	s_delay_alu instid0(VALU_DEP_1) | instskip(NEXT) | instid1(VALU_DEP_1)
	v_lshlrev_b64 v[63:64], 1, v[63:64]
	v_add_co_u32 v63, vcc_lo, s28, v63
	s_delay_alu instid0(VALU_DEP_1)
	v_add_co_ci_u32_e64 v64, null, s29, v64, vcc_lo
	.loc	1 61 24 is_stmt 1               ; persistent_matmul.py:61:24
	global_load_u16 v63, v[63:64], off
.LBB0_123:
	.loc	1 0 24 is_stmt 0                ; persistent_matmul.py:0:24
	s_or_b32 exec_lo, exec_lo, s0
	.loc	1 40 35 is_stmt 1               ; persistent_matmul.py:40:35
	v_or_b32_e32 v64, 58, v66
	s_delay_alu instid0(VALU_DEP_1) | instskip(SKIP_2) | instid1(SALU_CYCLE_1)
	.loc	1 61 64                         ; persistent_matmul.py:61:64
	v_cmp_gt_i32_e32 vcc_lo, s38, v64
	scratch_store_b32 off, v64, off offset:276 ; 4-byte Folded Spill
	.loc	1 43 59                         ; persistent_matmul.py:43:59
	s_and_b32 s1, vcc_lo, s35
	.loc	1 61 24                         ; persistent_matmul.py:61:24
	s_and_saveexec_b32 s0, s1
	s_cbranch_execz .LBB0_125
; %bb.124:
	.loc	1 58 60                         ; persistent_matmul.py:58:60
	v_or_b32_e32 v62, 58, v66
	s_delay_alu instid0(VALU_DEP_1) | instskip(NEXT) | instid1(VALU_DEP_1)
	v_mad_u64_u32 v[64:65], null, s42, v62, v[200:201]
	.loc	1 58 30 is_stmt 0               ; persistent_matmul.py:58:30
	v_ashrrev_i32_e32 v65, 31, v64
	s_delay_alu instid0(VALU_DEP_1) | instskip(NEXT) | instid1(VALU_DEP_1)
	v_lshlrev_b64 v[64:65], 1, v[64:65]
	v_add_co_u32 v64, vcc_lo, s28, v64
	s_delay_alu instid0(VALU_DEP_1)
	v_add_co_ci_u32_e64 v65, null, s29, v65, vcc_lo
	.loc	1 61 24 is_stmt 1               ; persistent_matmul.py:61:24
	global_load_u16 v62, v[64:65], off
.LBB0_125:
	.loc	1 0 24 is_stmt 0                ; persistent_matmul.py:0:24
	s_or_b32 exec_lo, exec_lo, s0
	.loc	1 40 35 is_stmt 1               ; persistent_matmul.py:40:35
	v_or_b32_e32 v64, 60, v66
	v_mov_b32_e32 v65, 0
	s_delay_alu instid0(VALU_DEP_2) | instskip(SKIP_3) | instid1(SALU_CYCLE_1)
	.loc	1 61 64                         ; persistent_matmul.py:61:64
	v_cmp_gt_i32_e32 vcc_lo, s38, v64
	scratch_store_b32 off, v64, off offset:152 ; 4-byte Folded Spill
	v_mov_b32_e32 v64, 0
	.loc	1 43 59                         ; persistent_matmul.py:43:59
	s_and_b32 s1, vcc_lo, s35
	.loc	1 61 24                         ; persistent_matmul.py:61:24
	s_and_saveexec_b32 s0, s1
	s_cbranch_execz .LBB0_127
; %bb.126:
	.loc	1 58 60                         ; persistent_matmul.py:58:60
	scratch_load_b32 v68, off, off offset:152 ; 4-byte Folded Reload
	v_mov_b32_e32 v67, v66
	s_waitcnt vmcnt(0)
	v_mad_u64_u32 v[65:66], null, s42, v68, v[200:201]
	s_delay_alu instid0(VALU_DEP_1) | instskip(NEXT) | instid1(VALU_DEP_1)
	.loc	1 58 30 is_stmt 0               ; persistent_matmul.py:58:30
	v_ashrrev_i32_e32 v66, 31, v65
	v_lshlrev_b64 v[65:66], 1, v[65:66]
	s_delay_alu instid0(VALU_DEP_1) | instskip(NEXT) | instid1(VALU_DEP_1)
	v_add_co_u32 v65, vcc_lo, s28, v65
	v_add_co_ci_u32_e64 v66, null, s29, v66, vcc_lo
	.loc	1 61 24 is_stmt 1               ; persistent_matmul.py:61:24
	global_load_u16 v65, v[65:66], off
	v_mov_b32_e32 v66, v67
.LBB0_127:
	.loc	1 0 24 is_stmt 0                ; persistent_matmul.py:0:24
	s_or_b32 exec_lo, exec_lo, s0
	scratch_store_b32 off, v66, off offset:160 ; 4-byte Folded Spill
	.loc	1 40 35 is_stmt 1               ; persistent_matmul.py:40:35
	v_or_b32_e32 v66, 62, v66
	s_delay_alu instid0(VALU_DEP_1) | instskip(SKIP_3) | instid1(SALU_CYCLE_1)
	.loc	1 61 64                         ; persistent_matmul.py:61:64
	v_cmp_gt_i32_e32 vcc_lo, s38, v66
	scratch_store_b32 off, v66, off offset:156 ; 4-byte Folded Spill
	v_and_b32_e32 v66, 0xc0, v0
	.loc	1 43 59                         ; persistent_matmul.py:43:59
	s_and_b32 s1, vcc_lo, s35
	.loc	1 61 24                         ; persistent_matmul.py:61:24
	s_and_saveexec_b32 s0, s1
	s_cbranch_execz .LBB0_129
; %bb.128:
	.loc	1 58 60                         ; persistent_matmul.py:58:60
	scratch_load_b32 v64, off, off offset:156 ; 4-byte Folded Reload
	s_waitcnt vmcnt(0)
	v_mad_u64_u32 v[67:68], null, s42, v64, v[200:201]
	s_delay_alu instid0(VALU_DEP_1) | instskip(NEXT) | instid1(VALU_DEP_1)
	.loc	1 58 30 is_stmt 0               ; persistent_matmul.py:58:30
	v_ashrrev_i32_e32 v68, 31, v67
	v_lshlrev_b64 v[67:68], 1, v[67:68]
	s_delay_alu instid0(VALU_DEP_1) | instskip(NEXT) | instid1(VALU_DEP_1)
	v_add_co_u32 v67, vcc_lo, s28, v67
	v_add_co_ci_u32_e64 v68, null, s29, v68, vcc_lo
	.loc	1 61 24 is_stmt 1               ; persistent_matmul.py:61:24
	global_load_u16 v64, v[67:68], off
.LBB0_129:
	.loc	1 0 24 is_stmt 0                ; persistent_matmul.py:0:24
	s_or_b32 exec_lo, exec_lo, s0
	.loc	1 60 24 is_stmt 1               ; persistent_matmul.py:60:24
	v_lshlrev_b32_e32 v67, 1, v0
	v_lshrrev_b32_e32 v66, 2, v66
	v_lshlrev_b32_e32 v0, 4, v0
	.loc	1 43 59                         ; persistent_matmul.py:43:59
	s_add_i32 s43, s2, -1
	s_add_i32 s39, s39, -1
	.loc	1 61 24                         ; persistent_matmul.py:61:24
	v_add_nc_u32_e32 v237, 0, v67
	.loc	1 60 24                         ; persistent_matmul.py:60:24
	v_xor_b32_e32 v66, v67, v66
	s_mov_b32 s40, 0
	.loc	1 43 59                         ; persistent_matmul.py:43:59
	s_cmp_lt_i32 s43, 1
	s_delay_alu instid0(VALU_DEP_1)
	.loc	1 60 24                         ; persistent_matmul.py:60:24
	v_add_nc_u32_e32 v235, 0, v66
	v_xor_b32_e32 v66, 64, v66
	s_waitcnt vmcnt(0)
	ds_store_b16 v235, v3
	ds_store_b16 v235, v5 offset:1024
	ds_store_b16 v235, v7 offset:2048
	;; [unrolled: 1-line block ×7, first 2 shown]
	v_add_nc_u32_e32 v215, 0, v66
	ds_store_b16 v235, v19 offset:8192
	ds_store_b16 v235, v21 offset:9216
	;; [unrolled: 1-line block ×16, first 2 shown]
	.loc	1 61 24                         ; persistent_matmul.py:61:24
	v_or_b32_e32 v2, 0x600, v67
	v_or_b32_e32 v3, 0xe00, v67
	v_or_b32_e32 v4, 0x2600, v67
	v_lshlrev_b32_e32 v8, 1, v1
	.loc	1 60 24                         ; persistent_matmul.py:60:24
	ds_store_b16 v215, v18 offset:8704
	ds_store_b16 v215, v20 offset:9728
	;; [unrolled: 1-line block ×8, first 2 shown]
	.loc	1 61 24                         ; persistent_matmul.py:61:24
	v_add_nc_u32_e32 v5, 0, v2
	v_or_b32_e32 v2, 0x1600, v67
	v_add_nc_u32_e32 v6, 0, v3
	v_or_b32_e32 v3, 0x1e00, v67
	v_add_nc_u32_e32 v4, 0, v4
	ds_store_b16 v237, v36 offset:16384
	ds_store_b16 v237, v30 offset:16896
	;; [unrolled: 1-line block ×8, first 2 shown]
	v_add_nc_u32_e32 v7, 0, v2
	v_or_b32_e32 v2, 0x2e00, v67
	v_add_nc_u32_e32 v9, 0, v3
	v_or_b32_e32 v3, 0x3600, v67
	ds_store_b16 v237, v45 offset:21504
	ds_store_b16 v237, v47 offset:22528
	;; [unrolled: 1-line block ×16, first 2 shown]
	v_add_nc_u32_e32 v10, 0, v2
	v_or_b32_e32 v2, 0x3e00, v67
	v_add_nc_u32_e32 v3, 0, v3
	s_clause 0x5                            ; 24-byte Folded Spill
	scratch_store_b32 off, v5, off offset:304
	scratch_store_b32 off, v6, off offset:308
	;; [unrolled: 1-line block ×6, first 2 shown]
	v_add_nc_u32_e32 v11, 0, v2
	v_lshlrev_b32_e32 v2, 7, v1
	ds_store_b16 v5, v35 offset:16384
	ds_store_b16 v6, v40 offset:16384
	ds_store_b16 v7, v44 offset:16384
	ds_store_b16 v9, v48 offset:16384
	ds_store_b16 v4, v52 offset:16384
	ds_store_b16 v10, v56 offset:16384
	ds_store_b16 v3, v60 offset:16384
	ds_store_b16 v11, v64 offset:16384
	.loc	1 43 59                         ; persistent_matmul.py:43:59
	s_clause 0x4                            ; 20-byte Folded Spill
	scratch_store_b32 off, v3, off offset:328
	scratch_store_b32 off, v11, off offset:332
	;; [unrolled: 1-line block ×5, first 2 shown]
	s_cbranch_scc1 .LBB0_393
; %bb.130:                              ; %.lr.ph
	.loc	1 0 59 is_stmt 0                ; persistent_matmul.py:0:59
	scratch_load_b32 v7, off, off offset:684 ; 4-byte Folded Reload
	v_and_or_b32 v6, 0x870, v0, v2
	s_clause 0xe                            ; 60-byte Folded Spill
	scratch_store_b32 off, v233, off offset:548
	scratch_store_b32 off, v220, off offset:544
	scratch_store_b32 off, v219, off offset:540
	scratch_store_b32 off, v218, off offset:536
	scratch_store_b32 off, v217, off offset:532
	scratch_store_b32 off, v216, off offset:528
	scratch_store_b32 off, v195, off offset:524
	scratch_store_b32 off, v194, off offset:520
	scratch_store_b32 off, v193, off offset:516
	scratch_store_b32 off, v187, off offset:512
	scratch_store_b32 off, v186, off offset:508
	scratch_store_b32 off, v185, off offset:504
	scratch_store_b32 off, v184, off offset:500
	scratch_store_b32 off, v131, off offset:496
	scratch_store_b32 off, v130, off offset:492
	.loc	1 38 28 is_stmt 1               ; persistent_matmul.py:38:28
	s_add_i32 s44, s15, 0xfffffed0
	s_mov_b32 s45, 0
	s_mov_b32 s46, s15
	v_xor_b32_e32 v0, 16, v6
	v_xor_b32_e32 v4, 0x50, v6
	;; [unrolled: 1-line block ×3, first 2 shown]
	v_mov_b32_e32 v56, 0
	v_xor_b32_e32 v2, 48, v6
	v_xor_b32_e32 v3, 64, v6
	v_add_nc_u32_e32 v233, 0, v4
	s_delay_alu instid0(VALU_DEP_4)
	v_dual_mov_b32 v57, v56 :: v_dual_add_nc_u32 v0, 0, v0
	scratch_store_b32 off, v6, off offset:336 ; 4-byte Folded Spill
	v_mov_b32_e32 v59, v56
	v_xor_b32_e32 v5, 0x60, v6
	scratch_store_b32 off, v0, off offset:340 ; 4-byte Folded Spill
	v_dual_mov_b32 v61, v56 :: v_dual_add_nc_u32 v0, 0, v1
	v_xor_b32_e32 v6, 0x70, v6
	v_mov_b32_e32 v58, v56
	v_mov_b32_e32 v60, v56
	scratch_store_b32 off, v0, off offset:344 ; 4-byte Folded Spill
	v_dual_mov_b32 v63, v56 :: v_dual_add_nc_u32 v0, 0, v2
	v_mov_b32_e32 v62, v56
	v_mov_b32_e32 v48, v56
	;; [unrolled: 1-line block ×3, first 2 shown]
	scratch_store_b32 off, v0, off offset:348 ; 4-byte Folded Spill
	v_dual_mov_b32 v49, v56 :: v_dual_add_nc_u32 v0, 0, v3
	v_mov_b32_e32 v52, v56
	v_mov_b32_e32 v53, v56
	;; [unrolled: 1-line block ×3, first 2 shown]
	scratch_store_b32 off, v0, off offset:352 ; 4-byte Folded Spill
	v_add_nc_u32_e32 v0, 0, v5
	v_mov_b32_e32 v54, v56
	v_mov_b32_e32 v55, v56
	;; [unrolled: 1-line block ×4, first 2 shown]
	scratch_store_b32 off, v0, off offset:356 ; 4-byte Folded Spill
	v_add_nc_u32_e32 v0, 0, v6
	v_mov_b32_e32 v42, v56
	v_mov_b32_e32 v43, v56
	;; [unrolled: 1-line block ×4, first 2 shown]
	scratch_store_b32 off, v0, off offset:360 ; 4-byte Folded Spill
	v_mov_b32_e32 v46, v56
	v_mov_b32_e32 v47, v56
	;; [unrolled: 1-line block ×40, first 2 shown]
	s_waitcnt vmcnt(0)
	v_add3_u32 v220, 0, v8, v7
	v_mov_b32_e32 v8, v56
	v_mov_b32_e32 v7, v56
	s_branch .LBB0_133
.LBB0_131:                              ; %Flow379
                                        ;   in Loop: Header=BB0_133 Depth=1
	.loc	1 0 28 is_stmt 0                ; persistent_matmul.py:0:28
	s_or_b32 exec_lo, exec_lo, s0
.LBB0_132:                              ;   in Loop: Header=BB0_133 Depth=1
	.loc	1 60 24 is_stmt 1               ; persistent_matmul.py:60:24
	s_waitcnt vmcnt(0)
	s_waitcnt_vscnt null, 0x0
	s_barrier
	buffer_gl0_inv
	scratch_load_b32 v64, off, off offset:4 ; 4-byte Folded Reload
	.loc	1 43 59                         ; persistent_matmul.py:43:59
	v_cndmask_b32_e64 v56, v56, 0, s47
	v_cndmask_b32_e64 v57, v57, 0, s47
	;; [unrolled: 1-line block ×64, first 2 shown]
	s_add_i32 s43, s43, -1
	s_delay_alu instid0(SALU_CYCLE_1)
	s_cmp_lg_u32 s43, 0
	.loc	1 60 24                         ; persistent_matmul.py:60:24
	s_waitcnt vmcnt(0)
	ds_store_b16 v235, v64
	scratch_load_b32 v64, off, off offset:12 ; 4-byte Folded Reload
	s_waitcnt vmcnt(0)
	ds_store_b16 v235, v64 offset:1024
	scratch_load_b32 v64, off, off offset:20 ; 4-byte Folded Reload
	s_waitcnt vmcnt(0)
	ds_store_b16 v235, v64 offset:2048
	scratch_load_b32 v64, off, off offset:28 ; 4-byte Folded Reload
	s_waitcnt vmcnt(0)
	ds_store_b16 v235, v64 offset:3072
	scratch_load_b32 v64, off, off offset:36 ; 4-byte Folded Reload
	s_waitcnt vmcnt(0)
	ds_store_b16 v235, v64 offset:4096
	scratch_load_b32 v64, off, off offset:44 ; 4-byte Folded Reload
	s_waitcnt vmcnt(0)
	ds_store_b16 v235, v64 offset:5120
	scratch_load_b32 v64, off, off offset:52 ; 4-byte Folded Reload
	s_waitcnt vmcnt(0)
	ds_store_b16 v235, v64 offset:6144
	scratch_load_b32 v64, off, off offset:60 ; 4-byte Folded Reload
	s_waitcnt vmcnt(0)
	ds_store_b16 v235, v64 offset:7168
	scratch_load_b32 v64, off, off offset:68 ; 4-byte Folded Reload
	s_waitcnt vmcnt(0)
	ds_store_b16 v235, v64 offset:8192
	scratch_load_b32 v64, off, off offset:76 ; 4-byte Folded Reload
	s_waitcnt vmcnt(0)
	ds_store_b16 v235, v64 offset:9216
	scratch_load_b32 v64, off, off offset:84 ; 4-byte Folded Reload
	s_waitcnt vmcnt(0)
	ds_store_b16 v235, v64 offset:10240
	scratch_load_b32 v64, off, off offset:92 ; 4-byte Folded Reload
	s_waitcnt vmcnt(0)
	ds_store_b16 v235, v64 offset:11264
	scratch_load_b32 v64, off, off offset:100 ; 4-byte Folded Reload
	s_waitcnt vmcnt(0)
	ds_store_b16 v235, v64 offset:12288
	scratch_load_b32 v64, off, off offset:108 ; 4-byte Folded Reload
	s_waitcnt vmcnt(0)
	ds_store_b16 v235, v64 offset:13312
	scratch_load_b32 v64, off, off offset:116 ; 4-byte Folded Reload
	s_waitcnt vmcnt(0)
	ds_store_b16 v235, v64 offset:14336
	scratch_load_b32 v64, off, off offset:124 ; 4-byte Folded Reload
	s_waitcnt vmcnt(0)
	ds_store_b16 v235, v64 offset:15360
	scratch_load_b32 v64, off, off          ; 4-byte Folded Reload
	s_waitcnt vmcnt(0)
	ds_store_b16 v215, v64 offset:512
	scratch_load_b32 v64, off, off offset:8 ; 4-byte Folded Reload
	s_waitcnt vmcnt(0)
	ds_store_b16 v215, v64 offset:1536
	scratch_load_b32 v64, off, off offset:16 ; 4-byte Folded Reload
	;; [unrolled: 3-line block ×15, first 2 shown]
	s_waitcnt vmcnt(0)
	ds_store_b16 v215, v64 offset:15872
	.loc	1 61 24                         ; persistent_matmul.py:61:24
	scratch_load_b32 v64, off, off offset:132 ; 4-byte Folded Reload
	s_waitcnt vmcnt(0)
	ds_store_b16 v237, v64 offset:16384
	scratch_load_b32 v64, off, off offset:128 ; 4-byte Folded Reload
	s_waitcnt vmcnt(0)
	ds_store_b16 v237, v64 offset:16896
	;; [unrolled: 3-line block ×3, first 2 shown]
	ds_store_b16 v237, v250 offset:18432
	scratch_load_b32 v64, off, off offset:144 ; 4-byte Folded Reload
	s_waitcnt vmcnt(0)
	ds_store_b16 v237, v64 offset:18944
	ds_store_b16 v237, v246 offset:19456
	;; [unrolled: 1-line block ×20, first 2 shown]
	s_clause 0x1                            ; 8-byte Folded Reload
	scratch_load_b32 v64, off, off offset:304
	scratch_load_b32 v65, off, off offset:136
	s_waitcnt vmcnt(0)
	ds_store_b16 v64, v65 offset:16384
	s_clause 0x1                            ; 8-byte Folded Reload
	scratch_load_b32 v64, off, off offset:308
	scratch_load_b32 v65, off, off offset:148
	s_waitcnt vmcnt(0)
	ds_store_b16 v64, v65 offset:16384
	scratch_load_b32 v64, off, off offset:312 ; 4-byte Folded Reload
	s_waitcnt vmcnt(0)
	ds_store_b16 v64, v229 offset:16384
	scratch_load_b32 v64, off, off offset:316 ; 4-byte Folded Reload
	;; [unrolled: 3-line block ×6, first 2 shown]
	s_waitcnt vmcnt(0)
	ds_store_b16 v64, v213 offset:16384
	.loc	1 43 59                         ; persistent_matmul.py:43:59
	s_cbranch_scc0 .LBB0_392
.LBB0_133:                              ; =>This Inner Loop Header: Depth=1
	.loc	1 43 59                         ; persistent_matmul.py:43:59
	s_add_i32 s0, s40, 1
	s_cmp_eq_u32 s40, s39
	s_cselect_b32 s47, -1, 0
	s_delay_alu instid0(SALU_CYCLE_1) | instskip(SKIP_1) | instid1(SALU_CYCLE_1)
	s_and_b32 s1, s47, exec_lo
	s_cselect_b32 s40, 0, s0
	s_cmp_eq_u32 s40, 0
	s_cselect_b32 s0, -1, 0
	s_cmp_lg_u32 s40, 0
	s_cbranch_scc1 .LBB0_135
; %bb.134:                              ;   in Loop: Header=BB0_133 Depth=1
	s_addk_i32 s46, 0x130
	.loc	1 47 28                         ; persistent_matmul.py:47:28
	s_clause 0x7                            ; 32-byte Folded Reload
	scratch_load_b32 v72, off, off offset:584
	scratch_load_b32 v73, off, off offset:588
	;; [unrolled: 1-line block ×8, first 2 shown]
.Ltmp33:
	.loc	1 10 26                         ; persistent_matmul.py:10:26 @[ persistent_matmul.py:44:88 ]
	s_abs_i32 s1, s46
	s_ashr_i32 s3, s46, 31
	s_mul_hi_u32 s2, s1, s37
	s_xor_b32 s5, s3, s36
	s_mul_i32 s4, s2, s34
	s_add_i32 s6, s2, 1
	s_sub_i32 s4, s1, s4
.Ltmp34:
	.loc	1 47 28                         ; persistent_matmul.py:47:28
	s_clause 0x7                            ; 32-byte Folded Reload
	scratch_load_b32 v80, off, off offset:616
	scratch_load_b32 v81, off, off offset:620
	scratch_load_b32 v82, off, off offset:624
	scratch_load_b32 v83, off, off offset:628
	scratch_load_b32 v84, off, off offset:632
	scratch_load_b32 v85, off, off offset:636
	scratch_load_b32 v86, off, off offset:640
	scratch_load_b32 v87, off, off offset:644
.Ltmp35:
	.loc	1 10 26                         ; persistent_matmul.py:10:26 @[ persistent_matmul.py:44:88 ]
	s_sub_i32 s7, s4, s34
	s_cmp_ge_u32 s4, s34
.Ltmp36:
	.loc	1 47 28                         ; persistent_matmul.py:47:28
	s_clause 0x7                            ; 32-byte Folded Reload
	scratch_load_b32 v88, off, off offset:648
	scratch_load_b32 v89, off, off offset:652
	;; [unrolled: 1-line block ×8, first 2 shown]
.Ltmp37:
	.loc	1 10 26                         ; persistent_matmul.py:10:26 @[ persistent_matmul.py:44:88 ]
	s_cselect_b32 s2, s6, s2
	s_cselect_b32 s4, s7, s4
	s_add_i32 s6, s2, 1
	s_cmp_ge_u32 s4, s34
.Ltmp38:
	.loc	1 48 28                         ; persistent_matmul.py:48:28
	scratch_load_b32 v96, off, off offset:680 ; 4-byte Folded Reload
.Ltmp39:
	.loc	1 10 26                         ; persistent_matmul.py:10:26 @[ persistent_matmul.py:44:88 ]
	s_cselect_b32 s2, s6, s2
.Ltmp40:
	.loc	1 47 28                         ; persistent_matmul.py:47:28
	s_clause 0x6                            ; 28-byte Folded Reload
	scratch_load_b32 v65, off, off offset:556
	scratch_load_b32 v66, off, off offset:560
	;; [unrolled: 1-line block ×7, first 2 shown]
.Ltmp41:
	.loc	1 10 26                         ; persistent_matmul.py:10:26 @[ persistent_matmul.py:44:88 ]
	s_xor_b32 s2, s2, s5
	s_delay_alu instid0(SALU_CYCLE_1) | instskip(NEXT) | instid1(SALU_CYCLE_1)
	s_sub_i32 s2, s2, s5
	.loc	1 11 29                         ; persistent_matmul.py:11:29 @[ persistent_matmul.py:44:88 ]
	s_lshl_b32 s4, s2, 3
	.loc	1 14 23                         ; persistent_matmul.py:14:23 @[ persistent_matmul.py:44:88 ]
	s_mul_i32 s2, s2, s33
	.loc	1 12 35                         ; persistent_matmul.py:12:35 @[ persistent_matmul.py:44:88 ]
	s_sub_i32 s5, s30, s4
	s_delay_alu instid0(SALU_CYCLE_1) | instskip(NEXT) | instid1(SALU_CYCLE_1)
	.loc	1 12 48 is_stmt 0               ; persistent_matmul.py:12:48 @[ persistent_matmul.py:44:88 ]
	s_min_i32 s5, s5, 8
	.loc	1 13 37 is_stmt 1               ; persistent_matmul.py:13:37 @[ persistent_matmul.py:44:88 ]
	s_abs_i32 s6, s5
	s_delay_alu instid0(SALU_CYCLE_1) | instskip(SKIP_1) | instid1(VALU_DEP_1)
	v_cvt_f32_u32_e32 v64, s6
	s_sub_i32 s8, 0, s6
	v_rcp_iflag_f32_e32 v64, v64
	s_waitcnt_depctr depctr_va_vdst(0)
	v_mul_f32_e32 v64, 0x4f7ffffe, v64
	s_delay_alu instid0(VALU_DEP_1) | instskip(NEXT) | instid1(VALU_DEP_1)
	v_cvt_u32_f32_e32 v64, v64
	v_readfirstlane_b32 s7, v64
.Ltmp42:
	.loc	1 47 28                         ; persistent_matmul.py:47:28
	scratch_load_b32 v64, off, off offset:552 ; 4-byte Folded Reload
.Ltmp43:
	.loc	1 13 37                         ; persistent_matmul.py:13:37 @[ persistent_matmul.py:44:88 ]
	s_mul_i32 s8, s8, s7
	s_delay_alu instid0(SALU_CYCLE_1) | instskip(NEXT) | instid1(SALU_CYCLE_1)
	s_mul_hi_u32 s8, s7, s8
	s_add_i32 s7, s7, s8
	s_delay_alu instid0(SALU_CYCLE_1) | instskip(NEXT) | instid1(SALU_CYCLE_1)
	s_mul_hi_u32 s8, s1, s7
	s_mul_i32 s8, s8, s6
	s_delay_alu instid0(SALU_CYCLE_1) | instskip(NEXT) | instid1(SALU_CYCLE_1)
	s_sub_i32 s1, s1, s8
	s_sub_i32 s8, s1, s6
	s_cmp_ge_u32 s1, s6
	s_cselect_b32 s1, s8, s1
	s_delay_alu instid0(SALU_CYCLE_1)
	s_sub_i32 s8, s1, s6
	s_cmp_ge_u32 s1, s6
	s_cselect_b32 s1, s8, s1
	.loc	1 14 23                         ; persistent_matmul.py:14:23 @[ persistent_matmul.py:44:88 ]
	s_sub_i32 s2, s46, s2
	.loc	1 13 37                         ; persistent_matmul.py:13:37 @[ persistent_matmul.py:44:88 ]
	s_xor_b32 s1, s1, s3
	.loc	1 14 44                         ; persistent_matmul.py:14:44 @[ persistent_matmul.py:44:88 ]
	s_xor_b32 s5, s2, s5
	s_abs_i32 s2, s2
	.loc	1 13 37                         ; persistent_matmul.py:13:37 @[ persistent_matmul.py:44:88 ]
	s_sub_i32 s1, s1, s3
	.loc	1 14 44                         ; persistent_matmul.py:14:44 @[ persistent_matmul.py:44:88 ]
	s_mul_hi_u32 s3, s2, s7
	.loc	1 13 27                         ; persistent_matmul.py:13:27 @[ persistent_matmul.py:44:88 ]
	s_add_i32 s4, s4, s1
	.loc	1 14 44                         ; persistent_matmul.py:14:44 @[ persistent_matmul.py:44:88 ]
	s_mul_i32 s7, s3, s6
	s_ashr_i32 s5, s5, 31
	s_sub_i32 s1, s2, s7
	s_add_i32 s2, s3, 1
	s_sub_i32 s7, s1, s6
	s_cmp_ge_u32 s1, s6
	s_cselect_b32 s2, s2, s3
	s_cselect_b32 s1, s7, s1
	s_add_i32 s3, s2, 1
	s_cmp_ge_u32 s1, s6
	s_cselect_b32 s1, s3, s2
.Ltmp44:
	.loc	1 45 26                         ; persistent_matmul.py:45:26
	s_lshl_b32 s2, s4, 7
.Ltmp45:
	.loc	1 14 44                         ; persistent_matmul.py:14:44 @[ persistent_matmul.py:44:88 ]
	s_xor_b32 s1, s1, s5
	s_delay_alu instid0(SALU_CYCLE_1)
	s_sub_i32 s1, s1, s5
.Ltmp46:
	.loc	1 47 28                         ; persistent_matmul.py:47:28
	s_waitcnt vmcnt(32)
	v_or_b32_e32 v72, s2, v72
	s_waitcnt vmcnt(31)
	v_or_b32_e32 v73, s2, v73
	;; [unrolled: 2-line block ×24, first 2 shown]
	.loc	1 48 28                         ; persistent_matmul.py:48:28
	s_waitcnt vmcnt(8)
	v_lshl_or_b32 v96, s1, 7, v96
	.loc	1 47 28                         ; persistent_matmul.py:47:28
	s_waitcnt vmcnt(7)
	v_or_b32_e32 v65, s2, v65
	s_waitcnt vmcnt(6)
	v_or_b32_e32 v66, s2, v66
	;; [unrolled: 2-line block ×8, first 2 shown]
	s_delay_alu instid0(VALU_DEP_1)
	.loc	1 49 37                         ; persistent_matmul.py:49:37
	v_cmp_gt_i32_e32 vcc_lo, s22, v64
	.loc	1 49 49 is_stmt 0               ; persistent_matmul.py:49:49
	v_cndmask_b32_e32 v64, 0, v64, vcc_lo
	.loc	1 49 37                         ; persistent_matmul.py:49:37
	v_cmp_gt_i32_e32 vcc_lo, s22, v65
	.loc	1 49 49                         ; persistent_matmul.py:49:49
	v_cndmask_b32_e32 v65, 0, v65, vcc_lo
	.loc	1 49 37                         ; persistent_matmul.py:49:37
	v_cmp_gt_i32_e32 vcc_lo, s22, v66
	.loc	1 49 49                         ; persistent_matmul.py:49:49
	;; [unrolled: 4-line block ×3, first 2 shown]
	v_cndmask_b32_e32 v67, 0, v67, vcc_lo
	.loc	1 57 49 is_stmt 1               ; persistent_matmul.py:57:49
	v_mul_lo_u32 v64, v64, s24
	.loc	1 49 37                         ; persistent_matmul.py:49:37
	v_cmp_gt_i32_e32 vcc_lo, s22, v68
	.loc	1 49 49 is_stmt 0               ; persistent_matmul.py:49:49
	v_cndmask_b32_e32 v68, 0, v68, vcc_lo
	.loc	1 49 37                         ; persistent_matmul.py:49:37
	v_cmp_gt_i32_e32 vcc_lo, s22, v69
	.loc	1 57 49 is_stmt 1               ; persistent_matmul.py:57:49
	scratch_store_b32 off, v64, off offset:364 ; 4-byte Folded Spill
	v_mul_lo_u32 v64, v65, s24
	.loc	1 49 49                         ; persistent_matmul.py:49:49
	v_cndmask_b32_e32 v69, 0, v69, vcc_lo
	.loc	1 49 37 is_stmt 0               ; persistent_matmul.py:49:37
	v_cmp_gt_i32_e32 vcc_lo, s22, v70
	.loc	1 57 49 is_stmt 1               ; persistent_matmul.py:57:49
	scratch_store_b32 off, v64, off offset:368 ; 4-byte Folded Spill
	v_mul_lo_u32 v64, v66, s24
	.loc	1 49 49                         ; persistent_matmul.py:49:49
	v_cndmask_b32_e32 v70, 0, v70, vcc_lo
	.loc	1 49 37 is_stmt 0               ; persistent_matmul.py:49:37
	v_cmp_gt_i32_e32 vcc_lo, s22, v71
	.loc	1 49 49                         ; persistent_matmul.py:49:49
	v_cndmask_b32_e32 v71, 0, v71, vcc_lo
	.loc	1 57 49 is_stmt 1               ; persistent_matmul.py:57:49
	scratch_store_b32 off, v64, off offset:372 ; 4-byte Folded Spill
	v_mul_lo_u32 v64, v67, s24
	.loc	1 49 37                         ; persistent_matmul.py:49:37
	v_cmp_gt_i32_e32 vcc_lo, s22, v72
	.loc	1 49 49 is_stmt 0               ; persistent_matmul.py:49:49
	v_cndmask_b32_e32 v72, 0, v72, vcc_lo
	.loc	1 49 37                         ; persistent_matmul.py:49:37
	v_cmp_gt_i32_e32 vcc_lo, s22, v73
	.loc	1 57 49 is_stmt 1               ; persistent_matmul.py:57:49
	scratch_store_b32 off, v64, off offset:376 ; 4-byte Folded Spill
	v_mul_lo_u32 v64, v68, s24
	.loc	1 49 49                         ; persistent_matmul.py:49:49
	v_cndmask_b32_e32 v73, 0, v73, vcc_lo
	.loc	1 49 37 is_stmt 0               ; persistent_matmul.py:49:37
	v_cmp_gt_i32_e32 vcc_lo, s22, v74
	.loc	1 57 49 is_stmt 1               ; persistent_matmul.py:57:49
	scratch_store_b32 off, v64, off offset:380 ; 4-byte Folded Spill
	v_mul_lo_u32 v64, v69, s24
	.loc	1 49 49                         ; persistent_matmul.py:49:49
	v_cndmask_b32_e32 v74, 0, v74, vcc_lo
	.loc	1 49 37 is_stmt 0               ; persistent_matmul.py:49:37
	v_cmp_gt_i32_e32 vcc_lo, s22, v75
	.loc	1 49 49                         ; persistent_matmul.py:49:49
	v_cndmask_b32_e32 v75, 0, v75, vcc_lo
	.loc	1 57 49 is_stmt 1               ; persistent_matmul.py:57:49
	scratch_store_b32 off, v64, off offset:384 ; 4-byte Folded Spill
	;; [unrolled: 25-line block ×7, first 2 shown]
	v_mul_lo_u32 v64, v85, s24
	.loc	1 50 37                         ; persistent_matmul.py:50:37
	v_cmp_gt_i32_e32 vcc_lo, s23, v96
	.loc	1 50 49 is_stmt 0               ; persistent_matmul.py:50:49
	v_cndmask_b32_e32 v96, 0, v96, vcc_lo
	.loc	1 57 49 is_stmt 1               ; persistent_matmul.py:57:49
	scratch_store_b32 off, v64, off offset:448 ; 4-byte Folded Spill
	v_mul_lo_u32 v64, v86, s24
	.loc	1 58 79                         ; persistent_matmul.py:58:79
	v_mul_lo_u32 v200, v96, s41
	.loc	1 57 49                         ; persistent_matmul.py:57:49
	scratch_store_b32 off, v64, off offset:452 ; 4-byte Folded Spill
	v_mul_lo_u32 v64, v87, s24
	scratch_store_b32 off, v64, off offset:456 ; 4-byte Folded Spill
	v_mul_lo_u32 v64, v88, s24
	;; [unrolled: 2-line block ×9, first 2 shown]
	.loc	1 58 79                         ; persistent_matmul.py:58:79
	scratch_store_b32 off, v64, off offset:488 ; 4-byte Folded Spill
.LBB0_135:                              ;   in Loop: Header=BB0_133 Depth=1
	.loc	1 0 79 is_stmt 0                ; persistent_matmul.py:0:79
	scratch_load_b32 v65, off, off offset:300 ; 4-byte Folded Reload
	.loc	1 43 59 is_stmt 1               ; persistent_matmul.py:43:59
	s_add_i32 s1, s45, 1
	s_and_b32 s0, s0, exec_lo
	s_cselect_b32 s45, 0, s1
	s_delay_alu instid0(SALU_CYCLE_1) | instskip(NEXT) | instid1(SALU_CYCLE_1)
	.loc	1 56 26                         ; persistent_matmul.py:56:26
	s_lshl_b32 s1, s45, 6
	.loc	1 60 68                         ; persistent_matmul.py:60:68
	s_sub_i32 s2, s38, s1
	.loc	1 56 41                         ; persistent_matmul.py:56:41
	s_waitcnt vmcnt(0)
	v_or_b32_e32 v64, s1, v65
	.loc	1 60 64                         ; persistent_matmul.py:60:64
	v_cmp_gt_i32_e32 vcc_lo, s2, v65
	v_mov_b32_e32 v65, 0
	s_delay_alu instid0(VALU_DEP_3)
	.loc	1 57 79                         ; persistent_matmul.py:57:79
	v_mul_lo_u32 v64, v64, s25
	scratch_store_b32 off, v65, off         ; 4-byte Folded Spill
	v_mov_b32_e32 v65, 0
	.loc	1 60 24                         ; persistent_matmul.py:60:24
	scratch_store_b32 off, v65, off offset:4 ; 4-byte Folded Spill
	s_and_saveexec_b32 s3, vcc_lo
	s_cbranch_execz .LBB0_137
; %bb.136:                              ;   in Loop: Header=BB0_133 Depth=1
	.loc	1 0 24 is_stmt 0                ; persistent_matmul.py:0:24
	scratch_load_b32 v65, off, off offset:364 ; 4-byte Folded Reload
	s_waitcnt vmcnt(0)
	v_add_nc_u32_e32 v65, v65, v64
	s_delay_alu instid0(VALU_DEP_1) | instskip(NEXT) | instid1(VALU_DEP_1)
	v_ashrrev_i32_e32 v66, 31, v65
	v_lshlrev_b64 v[65:66], 1, v[65:66]
	s_delay_alu instid0(VALU_DEP_1) | instskip(NEXT) | instid1(VALU_DEP_1)
	v_add_co_u32 v65, s0, s26, v65
	v_add_co_ci_u32_e64 v66, null, s27, v66, s0
	.loc	1 60 24                         ; persistent_matmul.py:60:24
	global_load_u16 v65, v[65:66], off
	s_waitcnt vmcnt(0)
	scratch_store_b32 off, v65, off offset:4 ; 4-byte Folded Spill
.LBB0_137:                              ;   in Loop: Header=BB0_133 Depth=1
	.loc	1 0 24                          ; persistent_matmul.py:0:24
	s_or_b32 exec_lo, exec_lo, s3
	.loc	1 60 24                         ; persistent_matmul.py:60:24
	s_and_saveexec_b32 s3, vcc_lo
	s_cbranch_execz .LBB0_139
; %bb.138:                              ;   in Loop: Header=BB0_133 Depth=1
	.loc	1 57 61 is_stmt 1               ; persistent_matmul.py:57:61
	scratch_load_b32 v65, off, off offset:368 ; 4-byte Folded Reload
	s_waitcnt vmcnt(0)
	v_add_nc_u32_e32 v65, v65, v64
	s_delay_alu instid0(VALU_DEP_1) | instskip(NEXT) | instid1(VALU_DEP_1)
	.loc	1 57 30 is_stmt 0               ; persistent_matmul.py:57:30
	v_ashrrev_i32_e32 v66, 31, v65
	v_lshlrev_b64 v[65:66], 1, v[65:66]
	s_delay_alu instid0(VALU_DEP_1) | instskip(NEXT) | instid1(VALU_DEP_1)
	v_add_co_u32 v65, s0, s26, v65
	v_add_co_ci_u32_e64 v66, null, s27, v66, s0
	.loc	1 60 24 is_stmt 1               ; persistent_matmul.py:60:24
	global_load_u16 v65, v[65:66], off
	s_waitcnt vmcnt(0)
	scratch_store_b32 off, v65, off         ; 4-byte Folded Spill
.LBB0_139:                              ;   in Loop: Header=BB0_133 Depth=1
	.loc	1 0 24 is_stmt 0                ; persistent_matmul.py:0:24
	s_or_b32 exec_lo, exec_lo, s3
	v_mov_b32_e32 v65, 0
	scratch_store_b32 off, v65, off offset:8 ; 4-byte Folded Spill
	v_mov_b32_e32 v65, 0
	.loc	1 60 24                         ; persistent_matmul.py:60:24
	scratch_store_b32 off, v65, off offset:12 ; 4-byte Folded Spill
	s_and_saveexec_b32 s3, vcc_lo
	s_cbranch_execz .LBB0_141
; %bb.140:                              ;   in Loop: Header=BB0_133 Depth=1
	.loc	1 57 61 is_stmt 1               ; persistent_matmul.py:57:61
	scratch_load_b32 v65, off, off offset:372 ; 4-byte Folded Reload
	s_waitcnt vmcnt(0)
	v_add_nc_u32_e32 v65, v65, v64
	s_delay_alu instid0(VALU_DEP_1) | instskip(NEXT) | instid1(VALU_DEP_1)
	.loc	1 57 30 is_stmt 0               ; persistent_matmul.py:57:30
	v_ashrrev_i32_e32 v66, 31, v65
	v_lshlrev_b64 v[65:66], 1, v[65:66]
	s_delay_alu instid0(VALU_DEP_1) | instskip(NEXT) | instid1(VALU_DEP_1)
	v_add_co_u32 v65, s0, s26, v65
	v_add_co_ci_u32_e64 v66, null, s27, v66, s0
	.loc	1 60 24 is_stmt 1               ; persistent_matmul.py:60:24
	global_load_u16 v65, v[65:66], off
	s_waitcnt vmcnt(0)
	scratch_store_b32 off, v65, off offset:12 ; 4-byte Folded Spill
.LBB0_141:                              ;   in Loop: Header=BB0_133 Depth=1
	.loc	1 0 24 is_stmt 0                ; persistent_matmul.py:0:24
	s_or_b32 exec_lo, exec_lo, s3
	.loc	1 60 24                         ; persistent_matmul.py:60:24
	s_and_saveexec_b32 s3, vcc_lo
	s_cbranch_execz .LBB0_143
; %bb.142:                              ;   in Loop: Header=BB0_133 Depth=1
	.loc	1 57 61 is_stmt 1               ; persistent_matmul.py:57:61
	scratch_load_b32 v65, off, off offset:376 ; 4-byte Folded Reload
	s_waitcnt vmcnt(0)
	v_add_nc_u32_e32 v65, v65, v64
	s_delay_alu instid0(VALU_DEP_1) | instskip(NEXT) | instid1(VALU_DEP_1)
	.loc	1 57 30 is_stmt 0               ; persistent_matmul.py:57:30
	v_ashrrev_i32_e32 v66, 31, v65
	v_lshlrev_b64 v[65:66], 1, v[65:66]
	s_delay_alu instid0(VALU_DEP_1) | instskip(NEXT) | instid1(VALU_DEP_1)
	v_add_co_u32 v65, s0, s26, v65
	v_add_co_ci_u32_e64 v66, null, s27, v66, s0
	.loc	1 60 24 is_stmt 1               ; persistent_matmul.py:60:24
	global_load_u16 v65, v[65:66], off
	s_waitcnt vmcnt(0)
	scratch_store_b32 off, v65, off offset:8 ; 4-byte Folded Spill
.LBB0_143:                              ;   in Loop: Header=BB0_133 Depth=1
	.loc	1 0 24 is_stmt 0                ; persistent_matmul.py:0:24
	s_or_b32 exec_lo, exec_lo, s3
	v_mov_b32_e32 v65, 0
	scratch_store_b32 off, v65, off offset:16 ; 4-byte Folded Spill
	v_mov_b32_e32 v65, 0
	.loc	1 60 24                         ; persistent_matmul.py:60:24
	scratch_store_b32 off, v65, off offset:20 ; 4-byte Folded Spill
	s_and_saveexec_b32 s3, vcc_lo
	s_cbranch_execz .LBB0_145
; %bb.144:                              ;   in Loop: Header=BB0_133 Depth=1
	.loc	1 57 61 is_stmt 1               ; persistent_matmul.py:57:61
	scratch_load_b32 v65, off, off offset:380 ; 4-byte Folded Reload
	s_waitcnt vmcnt(0)
	v_add_nc_u32_e32 v65, v65, v64
	s_delay_alu instid0(VALU_DEP_1) | instskip(NEXT) | instid1(VALU_DEP_1)
	.loc	1 57 30 is_stmt 0               ; persistent_matmul.py:57:30
	v_ashrrev_i32_e32 v66, 31, v65
	v_lshlrev_b64 v[65:66], 1, v[65:66]
	s_delay_alu instid0(VALU_DEP_1) | instskip(NEXT) | instid1(VALU_DEP_1)
	v_add_co_u32 v65, s0, s26, v65
	v_add_co_ci_u32_e64 v66, null, s27, v66, s0
	.loc	1 60 24 is_stmt 1               ; persistent_matmul.py:60:24
	global_load_u16 v65, v[65:66], off
	s_waitcnt vmcnt(0)
	scratch_store_b32 off, v65, off offset:20 ; 4-byte Folded Spill
.LBB0_145:                              ;   in Loop: Header=BB0_133 Depth=1
	.loc	1 0 24 is_stmt 0                ; persistent_matmul.py:0:24
	s_or_b32 exec_lo, exec_lo, s3
	.loc	1 60 24                         ; persistent_matmul.py:60:24
	s_and_saveexec_b32 s3, vcc_lo
	s_cbranch_execz .LBB0_147
; %bb.146:                              ;   in Loop: Header=BB0_133 Depth=1
	.loc	1 57 61 is_stmt 1               ; persistent_matmul.py:57:61
	scratch_load_b32 v65, off, off offset:384 ; 4-byte Folded Reload
	s_waitcnt vmcnt(0)
	v_add_nc_u32_e32 v65, v65, v64
	s_delay_alu instid0(VALU_DEP_1) | instskip(NEXT) | instid1(VALU_DEP_1)
	.loc	1 57 30 is_stmt 0               ; persistent_matmul.py:57:30
	v_ashrrev_i32_e32 v66, 31, v65
	v_lshlrev_b64 v[65:66], 1, v[65:66]
	s_delay_alu instid0(VALU_DEP_1) | instskip(NEXT) | instid1(VALU_DEP_1)
	v_add_co_u32 v65, s0, s26, v65
	v_add_co_ci_u32_e64 v66, null, s27, v66, s0
	.loc	1 60 24 is_stmt 1               ; persistent_matmul.py:60:24
	global_load_u16 v65, v[65:66], off
	s_waitcnt vmcnt(0)
	scratch_store_b32 off, v65, off offset:16 ; 4-byte Folded Spill
.LBB0_147:                              ;   in Loop: Header=BB0_133 Depth=1
	;; [unrolled: 48-line block ×14, first 2 shown]
	.loc	1 0 24 is_stmt 0                ; persistent_matmul.py:0:24
	s_or_b32 exec_lo, exec_lo, s3
	v_mov_b32_e32 v65, 0
	scratch_store_b32 off, v65, off offset:120 ; 4-byte Folded Spill
	v_mov_b32_e32 v65, 0
	.loc	1 60 24                         ; persistent_matmul.py:60:24
	scratch_store_b32 off, v65, off offset:124 ; 4-byte Folded Spill
	s_and_saveexec_b32 s3, vcc_lo
	s_cbranch_execz .LBB0_197
; %bb.196:                              ;   in Loop: Header=BB0_133 Depth=1
	.loc	1 57 61 is_stmt 1               ; persistent_matmul.py:57:61
	scratch_load_b32 v65, off, off offset:484 ; 4-byte Folded Reload
	s_waitcnt vmcnt(0)
	v_add_nc_u32_e32 v65, v65, v64
	s_delay_alu instid0(VALU_DEP_1) | instskip(NEXT) | instid1(VALU_DEP_1)
	.loc	1 57 30 is_stmt 0               ; persistent_matmul.py:57:30
	v_ashrrev_i32_e32 v66, 31, v65
	v_lshlrev_b64 v[65:66], 1, v[65:66]
	s_delay_alu instid0(VALU_DEP_1) | instskip(NEXT) | instid1(VALU_DEP_1)
	v_add_co_u32 v65, s0, s26, v65
	v_add_co_ci_u32_e64 v66, null, s27, v66, s0
	.loc	1 60 24 is_stmt 1               ; persistent_matmul.py:60:24
	global_load_u16 v65, v[65:66], off
	s_waitcnt vmcnt(0)
	scratch_store_b32 off, v65, off offset:124 ; 4-byte Folded Spill
.LBB0_197:                              ;   in Loop: Header=BB0_133 Depth=1
	.loc	1 0 24 is_stmt 0                ; persistent_matmul.py:0:24
	s_or_b32 exec_lo, exec_lo, s3
	.loc	1 60 24                         ; persistent_matmul.py:60:24
	s_and_saveexec_b32 s0, vcc_lo
	s_cbranch_execz .LBB0_199
; %bb.198:                              ;   in Loop: Header=BB0_133 Depth=1
	.loc	1 57 61 is_stmt 1               ; persistent_matmul.py:57:61
	scratch_load_b32 v65, off, off offset:488 ; 4-byte Folded Reload
	s_waitcnt vmcnt(0)
	v_add_nc_u32_e32 v64, v65, v64
	s_delay_alu instid0(VALU_DEP_1) | instskip(NEXT) | instid1(VALU_DEP_1)
	.loc	1 57 30 is_stmt 0               ; persistent_matmul.py:57:30
	v_ashrrev_i32_e32 v65, 31, v64
	v_lshlrev_b64 v[64:65], 1, v[64:65]
	s_delay_alu instid0(VALU_DEP_1) | instskip(NEXT) | instid1(VALU_DEP_1)
	v_add_co_u32 v64, vcc_lo, s26, v64
	v_add_co_ci_u32_e64 v65, null, s27, v65, vcc_lo
	.loc	1 60 24 is_stmt 1               ; persistent_matmul.py:60:24
	global_load_u16 v64, v[64:65], off
	s_waitcnt vmcnt(0)
	scratch_store_b32 off, v64, off offset:120 ; 4-byte Folded Spill
.LBB0_199:                              ;   in Loop: Header=BB0_133 Depth=1
	.loc	1 0 24 is_stmt 0                ; persistent_matmul.py:0:24
	s_or_b32 exec_lo, exec_lo, s0
	.loc	1 60 24                         ; persistent_matmul.py:60:24
	scratch_load_b32 v64, off, off offset:336 ; 4-byte Folded Reload
	s_waitcnt vmcnt(0)
	v_add_nc_u32_e32 v64, 0, v64
	s_waitcnt lgkmcnt(0)
	s_waitcnt_vscnt null, 0x0
	s_barrier
	buffer_gl0_inv
	.loc	1 61 64 is_stmt 1               ; persistent_matmul.py:61:64
	s_clause 0x2                            ; 12-byte Folded Reload
	scratch_load_b32 v65, off, off offset:340
	scratch_load_b32 v88, off, off offset:356
	;; [unrolled: 1-line block ×3, first 2 shown]
	.loc	1 60 24                         ; persistent_matmul.py:60:24
	ds_load_b128 v[160:163], v64
	ds_load_b128 v[168:171], v64 offset:4096
	s_waitcnt vmcnt(2)
	ds_load_b128 v[164:167], v65
	ds_load_b128 v[172:175], v65 offset:4096
	ds_load_b128 v[176:179], v64 offset:8192
	;; [unrolled: 1-line block ×5, first 2 shown]
	s_clause 0x2                            ; 12-byte Folded Reload
	scratch_load_b32 v64, off, off offset:344
	scratch_load_b32 v65, off, off offset:348
	;; [unrolled: 1-line block ×3, first 2 shown]
	.loc	1 61 64                         ; persistent_matmul.py:61:64
	s_waitcnt vmcnt(3)
	v_cmp_gt_i32_e32 vcc_lo, s2, v192
	v_mov_b32_e32 v192, 0
	.loc	1 60 24                         ; persistent_matmul.py:60:24
	s_waitcnt vmcnt(2)
	ds_load_b128 v[128:131], v64
	ds_load_b128 v[136:139], v64 offset:4096
	s_waitcnt vmcnt(1)
	ds_load_b128 v[132:135], v65
	ds_load_b128 v[140:143], v65 offset:4096
	ds_load_b128 v[148:151], v65 offset:8192
	;; [unrolled: 1-line block ×5, first 2 shown]
	ds_load_b128 v[100:103], v233
	scratch_load_b32 v64, off, off offset:352 ; 4-byte Folded Reload
	s_waitcnt vmcnt(1)
	ds_load_b128 v[68:71], v92
	scratch_store_b32 off, v192, off offset:128 ; 4-byte Folded Spill
	v_mov_b32_e32 v192, 0
	s_waitcnt vmcnt(0)
	ds_load_b128 v[96:99], v64
	ds_load_b128 v[104:107], v64 offset:4096
	ds_load_b128 v[108:111], v233 offset:4096
	ds_load_b128 v[116:119], v233 offset:8192
	ds_load_b128 v[112:115], v64 offset:8192
	ds_load_b128 v[120:123], v64 offset:12288
	ds_load_b128 v[124:127], v233 offset:12288
	ds_load_b128 v[64:67], v88
	ds_load_b128 v[72:75], v88 offset:4096
	ds_load_b128 v[76:79], v92 offset:4096
	ds_load_b128 v[84:87], v92 offset:8192
	ds_load_b128 v[80:83], v88 offset:8192
	ds_load_b128 v[88:91], v88 offset:12288
	ds_load_b128 v[92:95], v92 offset:12288
	.loc	1 61 24                         ; persistent_matmul.py:61:24
	scratch_store_b32 off, v192, off offset:132 ; 4-byte Folded Spill
	s_and_saveexec_b32 s0, vcc_lo
	s_cbranch_execz .LBB0_201
; %bb.200:                              ;   in Loop: Header=BB0_133 Depth=1
	.loc	1 56 41                         ; persistent_matmul.py:56:41
	scratch_load_b32 v192, off, off offset:160 ; 4-byte Folded Reload
	s_waitcnt vmcnt(0)
	v_or_b32_e32 v194, s1, v192
	s_delay_alu instid0(VALU_DEP_1) | instskip(NEXT) | instid1(VALU_DEP_1)
	.loc	1 58 60                         ; persistent_matmul.py:58:60
	v_mad_u64_u32 v[192:193], null, v194, s42, v[200:201]
	.loc	1 58 30 is_stmt 0               ; persistent_matmul.py:58:30
	v_ashrrev_i32_e32 v193, 31, v192
	s_delay_alu instid0(VALU_DEP_1) | instskip(NEXT) | instid1(VALU_DEP_1)
	v_lshlrev_b64 v[192:193], 1, v[192:193]
	v_add_co_u32 v192, vcc_lo, s28, v192
	s_delay_alu instid0(VALU_DEP_1)
	v_add_co_ci_u32_e64 v193, null, s29, v193, vcc_lo
	.loc	1 61 24 is_stmt 1               ; persistent_matmul.py:61:24
	global_load_u16 v192, v[192:193], off
	s_waitcnt vmcnt(0)
	scratch_store_b32 off, v192, off offset:132 ; 4-byte Folded Spill
.LBB0_201:                              ;   in Loop: Header=BB0_133 Depth=1
	.loc	1 0 24 is_stmt 0                ; persistent_matmul.py:0:24
	s_or_b32 exec_lo, exec_lo, s0
	.loc	1 61 64                         ; persistent_matmul.py:61:64
	scratch_load_b32 v192, off, off offset:164 ; 4-byte Folded Reload
	.loc	1 61 24                         ; persistent_matmul.py:61:24
	s_mov_b32 s0, exec_lo
	.loc	1 61 64                         ; persistent_matmul.py:61:64
	s_waitcnt vmcnt(0)
	v_cmpx_gt_i32_e64 s2, v192
	.loc	1 61 24                         ; persistent_matmul.py:61:24
	s_cbranch_execz .LBB0_203
; %bb.202:                              ;   in Loop: Header=BB0_133 Depth=1
	.loc	1 56 41 is_stmt 1               ; persistent_matmul.py:56:41
	scratch_load_b32 v192, off, off offset:164 ; 4-byte Folded Reload
	s_waitcnt vmcnt(0)
	v_or_b32_e32 v194, s1, v192
	s_delay_alu instid0(VALU_DEP_1) | instskip(NEXT) | instid1(VALU_DEP_1)
	.loc	1 58 60                         ; persistent_matmul.py:58:60
	v_mad_u64_u32 v[192:193], null, v194, s42, v[200:201]
	.loc	1 58 30 is_stmt 0               ; persistent_matmul.py:58:30
	v_ashrrev_i32_e32 v193, 31, v192
	s_delay_alu instid0(VALU_DEP_1) | instskip(NEXT) | instid1(VALU_DEP_1)
	v_lshlrev_b64 v[192:193], 1, v[192:193]
	v_add_co_u32 v192, vcc_lo, s28, v192
	s_delay_alu instid0(VALU_DEP_1)
	v_add_co_ci_u32_e64 v193, null, s29, v193, vcc_lo
	.loc	1 61 24 is_stmt 1               ; persistent_matmul.py:61:24
	global_load_u16 v192, v[192:193], off
	s_waitcnt vmcnt(0)
	scratch_store_b32 off, v192, off offset:128 ; 4-byte Folded Spill
.LBB0_203:                              ;   in Loop: Header=BB0_133 Depth=1
	.loc	1 0 24 is_stmt 0                ; persistent_matmul.py:0:24
	s_or_b32 exec_lo, exec_lo, s0
	.loc	1 61 64                         ; persistent_matmul.py:61:64
	scratch_load_b32 v192, off, off offset:168 ; 4-byte Folded Reload
	s_waitcnt vmcnt(0)
	v_cmp_gt_i32_e32 vcc_lo, s2, v192
	v_mov_b32_e32 v192, 0
	scratch_store_b32 off, v192, off offset:136 ; 4-byte Folded Spill
	v_mov_b32_e32 v192, 0
	.loc	1 61 24                         ; persistent_matmul.py:61:24
	scratch_store_b32 off, v192, off offset:140 ; 4-byte Folded Spill
	s_and_saveexec_b32 s0, vcc_lo
	s_cbranch_execz .LBB0_205
; %bb.204:                              ;   in Loop: Header=BB0_133 Depth=1
	.loc	1 56 41 is_stmt 1               ; persistent_matmul.py:56:41
	scratch_load_b32 v192, off, off offset:168 ; 4-byte Folded Reload
	s_waitcnt vmcnt(0)
	v_or_b32_e32 v194, s1, v192
	s_delay_alu instid0(VALU_DEP_1) | instskip(NEXT) | instid1(VALU_DEP_1)
	.loc	1 58 60                         ; persistent_matmul.py:58:60
	v_mad_u64_u32 v[192:193], null, v194, s42, v[200:201]
	.loc	1 58 30 is_stmt 0               ; persistent_matmul.py:58:30
	v_ashrrev_i32_e32 v193, 31, v192
	s_delay_alu instid0(VALU_DEP_1) | instskip(NEXT) | instid1(VALU_DEP_1)
	v_lshlrev_b64 v[192:193], 1, v[192:193]
	v_add_co_u32 v192, vcc_lo, s28, v192
	s_delay_alu instid0(VALU_DEP_1)
	v_add_co_ci_u32_e64 v193, null, s29, v193, vcc_lo
	.loc	1 61 24 is_stmt 1               ; persistent_matmul.py:61:24
	global_load_u16 v192, v[192:193], off
	s_waitcnt vmcnt(0)
	scratch_store_b32 off, v192, off offset:140 ; 4-byte Folded Spill
.LBB0_205:                              ;   in Loop: Header=BB0_133 Depth=1
	.loc	1 0 24 is_stmt 0                ; persistent_matmul.py:0:24
	s_or_b32 exec_lo, exec_lo, s0
	.loc	1 61 64                         ; persistent_matmul.py:61:64
	scratch_load_b32 v192, off, off offset:172 ; 4-byte Folded Reload
	.loc	1 61 24                         ; persistent_matmul.py:61:24
	s_mov_b32 s0, exec_lo
	.loc	1 61 64                         ; persistent_matmul.py:61:64
	s_waitcnt vmcnt(0)
	v_cmpx_gt_i32_e64 s2, v192
	.loc	1 61 24                         ; persistent_matmul.py:61:24
	s_cbranch_execz .LBB0_207
; %bb.206:                              ;   in Loop: Header=BB0_133 Depth=1
	.loc	1 56 41 is_stmt 1               ; persistent_matmul.py:56:41
	scratch_load_b32 v192, off, off offset:172 ; 4-byte Folded Reload
	s_waitcnt vmcnt(0)
	v_or_b32_e32 v194, s1, v192
	s_delay_alu instid0(VALU_DEP_1) | instskip(NEXT) | instid1(VALU_DEP_1)
	.loc	1 58 60                         ; persistent_matmul.py:58:60
	v_mad_u64_u32 v[192:193], null, v194, s42, v[200:201]
	.loc	1 58 30 is_stmt 0               ; persistent_matmul.py:58:30
	v_ashrrev_i32_e32 v193, 31, v192
	s_delay_alu instid0(VALU_DEP_1) | instskip(NEXT) | instid1(VALU_DEP_1)
	v_lshlrev_b64 v[192:193], 1, v[192:193]
	v_add_co_u32 v192, vcc_lo, s28, v192
	s_delay_alu instid0(VALU_DEP_1)
	v_add_co_ci_u32_e64 v193, null, s29, v193, vcc_lo
	.loc	1 61 24 is_stmt 1               ; persistent_matmul.py:61:24
	global_load_u16 v192, v[192:193], off
	s_waitcnt vmcnt(0)
	scratch_store_b32 off, v192, off offset:136 ; 4-byte Folded Spill
.LBB0_207:                              ;   in Loop: Header=BB0_133 Depth=1
	.loc	1 0 24 is_stmt 0                ; persistent_matmul.py:0:24
	s_or_b32 exec_lo, exec_lo, s0
	.loc	1 61 64                         ; persistent_matmul.py:61:64
	scratch_load_b32 v192, off, off offset:176 ; 4-byte Folded Reload
	v_mov_b32_e32 v250, 0
	s_waitcnt vmcnt(0)
	v_cmp_gt_i32_e32 vcc_lo, s2, v192
	v_mov_b32_e32 v192, 0
	scratch_store_b32 off, v192, off offset:144 ; 4-byte Folded Spill
	.loc	1 61 24                         ; persistent_matmul.py:61:24
	s_and_saveexec_b32 s0, vcc_lo
	s_cbranch_execz .LBB0_209
; %bb.208:                              ;   in Loop: Header=BB0_133 Depth=1
	.loc	1 56 41 is_stmt 1               ; persistent_matmul.py:56:41
	scratch_load_b32 v192, off, off offset:176 ; 4-byte Folded Reload
	s_waitcnt vmcnt(0)
	v_or_b32_e32 v194, s1, v192
	s_delay_alu instid0(VALU_DEP_1) | instskip(NEXT) | instid1(VALU_DEP_1)
	.loc	1 58 60                         ; persistent_matmul.py:58:60
	v_mad_u64_u32 v[192:193], null, v194, s42, v[200:201]
	.loc	1 58 30 is_stmt 0               ; persistent_matmul.py:58:30
	v_ashrrev_i32_e32 v193, 31, v192
	s_delay_alu instid0(VALU_DEP_1) | instskip(NEXT) | instid1(VALU_DEP_1)
	v_lshlrev_b64 v[192:193], 1, v[192:193]
	v_add_co_u32 v192, vcc_lo, s28, v192
	s_delay_alu instid0(VALU_DEP_1)
	v_add_co_ci_u32_e64 v193, null, s29, v193, vcc_lo
	.loc	1 61 24 is_stmt 1               ; persistent_matmul.py:61:24
	global_load_u16 v250, v[192:193], off
.LBB0_209:                              ;   in Loop: Header=BB0_133 Depth=1
	.loc	1 0 24 is_stmt 0                ; persistent_matmul.py:0:24
	s_or_b32 exec_lo, exec_lo, s0
	.loc	1 61 64                         ; persistent_matmul.py:61:64
	scratch_load_b32 v192, off, off offset:180 ; 4-byte Folded Reload
	.loc	1 61 24                         ; persistent_matmul.py:61:24
	s_mov_b32 s0, exec_lo
	.loc	1 61 64                         ; persistent_matmul.py:61:64
	s_waitcnt vmcnt(0)
	v_cmpx_gt_i32_e64 s2, v192
	.loc	1 61 24                         ; persistent_matmul.py:61:24
	s_cbranch_execz .LBB0_211
; %bb.210:                              ;   in Loop: Header=BB0_133 Depth=1
	.loc	1 56 41 is_stmt 1               ; persistent_matmul.py:56:41
	scratch_load_b32 v192, off, off offset:180 ; 4-byte Folded Reload
	s_waitcnt vmcnt(0)
	v_or_b32_e32 v194, s1, v192
	s_delay_alu instid0(VALU_DEP_1) | instskip(NEXT) | instid1(VALU_DEP_1)
	.loc	1 58 60                         ; persistent_matmul.py:58:60
	v_mad_u64_u32 v[192:193], null, v194, s42, v[200:201]
	.loc	1 58 30 is_stmt 0               ; persistent_matmul.py:58:30
	v_ashrrev_i32_e32 v193, 31, v192
	s_delay_alu instid0(VALU_DEP_1) | instskip(NEXT) | instid1(VALU_DEP_1)
	v_lshlrev_b64 v[192:193], 1, v[192:193]
	v_add_co_u32 v192, vcc_lo, s28, v192
	s_delay_alu instid0(VALU_DEP_1)
	v_add_co_ci_u32_e64 v193, null, s29, v193, vcc_lo
	.loc	1 61 24 is_stmt 1               ; persistent_matmul.py:61:24
	global_load_u16 v192, v[192:193], off
	s_waitcnt vmcnt(0)
	scratch_store_b32 off, v192, off offset:144 ; 4-byte Folded Spill
.LBB0_211:                              ;   in Loop: Header=BB0_133 Depth=1
	.loc	1 0 24 is_stmt 0                ; persistent_matmul.py:0:24
	s_or_b32 exec_lo, exec_lo, s0
	.loc	1 61 64                         ; persistent_matmul.py:61:64
	scratch_load_b32 v192, off, off offset:184 ; 4-byte Folded Reload
	v_mov_b32_e32 v246, 0
	s_waitcnt vmcnt(0)
	v_cmp_gt_i32_e32 vcc_lo, s2, v192
	v_mov_b32_e32 v192, 0
	scratch_store_b32 off, v192, off offset:148 ; 4-byte Folded Spill
	.loc	1 61 24                         ; persistent_matmul.py:61:24
	s_and_saveexec_b32 s0, vcc_lo
	s_cbranch_execz .LBB0_213
; %bb.212:                              ;   in Loop: Header=BB0_133 Depth=1
	.loc	1 56 41 is_stmt 1               ; persistent_matmul.py:56:41
	scratch_load_b32 v192, off, off offset:184 ; 4-byte Folded Reload
	s_waitcnt vmcnt(0)
	v_or_b32_e32 v194, s1, v192
	s_delay_alu instid0(VALU_DEP_1) | instskip(NEXT) | instid1(VALU_DEP_1)
	.loc	1 58 60                         ; persistent_matmul.py:58:60
	v_mad_u64_u32 v[192:193], null, v194, s42, v[200:201]
	.loc	1 58 30 is_stmt 0               ; persistent_matmul.py:58:30
	v_ashrrev_i32_e32 v193, 31, v192
	s_delay_alu instid0(VALU_DEP_1) | instskip(NEXT) | instid1(VALU_DEP_1)
	v_lshlrev_b64 v[192:193], 1, v[192:193]
	v_add_co_u32 v192, vcc_lo, s28, v192
	s_delay_alu instid0(VALU_DEP_1)
	v_add_co_ci_u32_e64 v193, null, s29, v193, vcc_lo
	.loc	1 61 24 is_stmt 1               ; persistent_matmul.py:61:24
	global_load_u16 v246, v[192:193], off
.LBB0_213:                              ;   in Loop: Header=BB0_133 Depth=1
	.loc	1 0 24 is_stmt 0                ; persistent_matmul.py:0:24
	s_or_b32 exec_lo, exec_lo, s0
	.loc	1 61 64                         ; persistent_matmul.py:61:64
	scratch_load_b32 v192, off, off offset:188 ; 4-byte Folded Reload
	.loc	1 61 24                         ; persistent_matmul.py:61:24
	s_mov_b32 s0, exec_lo
	.loc	1 61 64                         ; persistent_matmul.py:61:64
	s_waitcnt vmcnt(0)
	v_cmpx_gt_i32_e64 s2, v192
	.loc	1 61 24                         ; persistent_matmul.py:61:24
	s_cbranch_execz .LBB0_215
; %bb.214:                              ;   in Loop: Header=BB0_133 Depth=1
	.loc	1 56 41 is_stmt 1               ; persistent_matmul.py:56:41
	scratch_load_b32 v192, off, off offset:188 ; 4-byte Folded Reload
	s_waitcnt vmcnt(0)
	v_or_b32_e32 v194, s1, v192
	s_delay_alu instid0(VALU_DEP_1) | instskip(NEXT) | instid1(VALU_DEP_1)
	.loc	1 58 60                         ; persistent_matmul.py:58:60
	v_mad_u64_u32 v[192:193], null, v194, s42, v[200:201]
	.loc	1 58 30 is_stmt 0               ; persistent_matmul.py:58:30
	v_ashrrev_i32_e32 v193, 31, v192
	s_delay_alu instid0(VALU_DEP_1) | instskip(NEXT) | instid1(VALU_DEP_1)
	v_lshlrev_b64 v[192:193], 1, v[192:193]
	v_add_co_u32 v192, vcc_lo, s28, v192
	s_delay_alu instid0(VALU_DEP_1)
	v_add_co_ci_u32_e64 v193, null, s29, v193, vcc_lo
	.loc	1 61 24 is_stmt 1               ; persistent_matmul.py:61:24
	global_load_u16 v192, v[192:193], off
	s_waitcnt vmcnt(0)
	scratch_store_b32 off, v192, off offset:148 ; 4-byte Folded Spill
.LBB0_215:                              ;   in Loop: Header=BB0_133 Depth=1
	.loc	1 0 24 is_stmt 0                ; persistent_matmul.py:0:24
	s_or_b32 exec_lo, exec_lo, s0
	.loc	1 61 64                         ; persistent_matmul.py:61:64
	scratch_load_b32 v192, off, off offset:192 ; 4-byte Folded Reload
	v_mov_b32_e32 v210, 0
	v_mov_b32_e32 v214, 0
	.loc	1 61 24                         ; persistent_matmul.py:61:24
	s_mov_b32 s0, exec_lo
	.loc	1 61 64                         ; persistent_matmul.py:61:64
	s_waitcnt vmcnt(0)
	v_cmpx_gt_i32_e64 s2, v192
	.loc	1 61 24                         ; persistent_matmul.py:61:24
	s_cbranch_execz .LBB0_217
; %bb.216:                              ;   in Loop: Header=BB0_133 Depth=1
	.loc	1 56 41 is_stmt 1               ; persistent_matmul.py:56:41
	scratch_load_b32 v192, off, off offset:192 ; 4-byte Folded Reload
	s_waitcnt vmcnt(0)
	v_or_b32_e32 v194, s1, v192
	s_delay_alu instid0(VALU_DEP_1) | instskip(NEXT) | instid1(VALU_DEP_1)
	.loc	1 58 60                         ; persistent_matmul.py:58:60
	v_mad_u64_u32 v[192:193], null, v194, s42, v[200:201]
	.loc	1 58 30 is_stmt 0               ; persistent_matmul.py:58:30
	v_ashrrev_i32_e32 v193, 31, v192
	s_delay_alu instid0(VALU_DEP_1) | instskip(NEXT) | instid1(VALU_DEP_1)
	v_lshlrev_b64 v[192:193], 1, v[192:193]
	v_add_co_u32 v192, vcc_lo, s28, v192
	s_delay_alu instid0(VALU_DEP_1)
	v_add_co_ci_u32_e64 v193, null, s29, v193, vcc_lo
	.loc	1 61 24 is_stmt 1               ; persistent_matmul.py:61:24
	global_load_u16 v214, v[192:193], off
.LBB0_217:                              ;   in Loop: Header=BB0_133 Depth=1
	.loc	1 0 24 is_stmt 0                ; persistent_matmul.py:0:24
	s_or_b32 exec_lo, exec_lo, s0
	.loc	1 61 64                         ; persistent_matmul.py:61:64
	scratch_load_b32 v192, off, off offset:196 ; 4-byte Folded Reload
	.loc	1 61 24                         ; persistent_matmul.py:61:24
	s_mov_b32 s0, exec_lo
	.loc	1 61 64                         ; persistent_matmul.py:61:64
	s_waitcnt vmcnt(0)
	v_cmpx_gt_i32_e64 s2, v192
	.loc	1 61 24                         ; persistent_matmul.py:61:24
	s_cbranch_execz .LBB0_219
; %bb.218:                              ;   in Loop: Header=BB0_133 Depth=1
	.loc	1 56 41 is_stmt 1               ; persistent_matmul.py:56:41
	scratch_load_b32 v192, off, off offset:196 ; 4-byte Folded Reload
	s_waitcnt vmcnt(0)
	v_or_b32_e32 v194, s1, v192
	s_delay_alu instid0(VALU_DEP_1) | instskip(NEXT) | instid1(VALU_DEP_1)
	.loc	1 58 60                         ; persistent_matmul.py:58:60
	v_mad_u64_u32 v[192:193], null, v194, s42, v[200:201]
	.loc	1 58 30 is_stmt 0               ; persistent_matmul.py:58:30
	v_ashrrev_i32_e32 v193, 31, v192
	s_delay_alu instid0(VALU_DEP_1) | instskip(NEXT) | instid1(VALU_DEP_1)
	v_lshlrev_b64 v[192:193], 1, v[192:193]
	v_add_co_u32 v192, vcc_lo, s28, v192
	s_delay_alu instid0(VALU_DEP_1)
	v_add_co_ci_u32_e64 v193, null, s29, v193, vcc_lo
	.loc	1 61 24 is_stmt 1               ; persistent_matmul.py:61:24
	global_load_u16 v210, v[192:193], off
.LBB0_219:                              ;   in Loop: Header=BB0_133 Depth=1
	.loc	1 0 24 is_stmt 0                ; persistent_matmul.py:0:24
	s_or_b32 exec_lo, exec_lo, s0
	.loc	1 61 64                         ; persistent_matmul.py:61:64
	scratch_load_b32 v192, off, off offset:200 ; 4-byte Folded Reload
	v_dual_mov_b32 v229, 0 :: v_dual_mov_b32 v236, 0
	.loc	1 61 24                         ; persistent_matmul.py:61:24
	s_mov_b32 s0, exec_lo
	.loc	1 61 64                         ; persistent_matmul.py:61:64
	s_waitcnt vmcnt(0)
	v_cmpx_gt_i32_e64 s2, v192
	.loc	1 61 24                         ; persistent_matmul.py:61:24
	s_cbranch_execz .LBB0_221
; %bb.220:                              ;   in Loop: Header=BB0_133 Depth=1
	.loc	1 56 41 is_stmt 1               ; persistent_matmul.py:56:41
	scratch_load_b32 v192, off, off offset:200 ; 4-byte Folded Reload
	s_waitcnt vmcnt(0)
	v_or_b32_e32 v194, s1, v192
	s_delay_alu instid0(VALU_DEP_1) | instskip(NEXT) | instid1(VALU_DEP_1)
	.loc	1 58 60                         ; persistent_matmul.py:58:60
	v_mad_u64_u32 v[192:193], null, v194, s42, v[200:201]
	.loc	1 58 30 is_stmt 0               ; persistent_matmul.py:58:30
	v_ashrrev_i32_e32 v193, 31, v192
	s_delay_alu instid0(VALU_DEP_1) | instskip(NEXT) | instid1(VALU_DEP_1)
	v_lshlrev_b64 v[192:193], 1, v[192:193]
	v_add_co_u32 v192, vcc_lo, s28, v192
	s_delay_alu instid0(VALU_DEP_1)
	v_add_co_ci_u32_e64 v193, null, s29, v193, vcc_lo
	.loc	1 61 24 is_stmt 1               ; persistent_matmul.py:61:24
	global_load_u16 v236, v[192:193], off
.LBB0_221:                              ;   in Loop: Header=BB0_133 Depth=1
	.loc	1 0 24 is_stmt 0                ; persistent_matmul.py:0:24
	s_or_b32 exec_lo, exec_lo, s0
	.loc	1 61 64                         ; persistent_matmul.py:61:64
	scratch_load_b32 v192, off, off offset:204 ; 4-byte Folded Reload
	.loc	1 61 24                         ; persistent_matmul.py:61:24
	s_mov_b32 s0, exec_lo
	.loc	1 61 64                         ; persistent_matmul.py:61:64
	s_waitcnt vmcnt(0)
	v_cmpx_gt_i32_e64 s2, v192
	.loc	1 61 24                         ; persistent_matmul.py:61:24
	s_cbranch_execz .LBB0_223
; %bb.222:                              ;   in Loop: Header=BB0_133 Depth=1
	.loc	1 56 41 is_stmt 1               ; persistent_matmul.py:56:41
	scratch_load_b32 v192, off, off offset:204 ; 4-byte Folded Reload
	s_waitcnt vmcnt(0)
	v_or_b32_e32 v194, s1, v192
	s_delay_alu instid0(VALU_DEP_1) | instskip(NEXT) | instid1(VALU_DEP_1)
	.loc	1 58 60                         ; persistent_matmul.py:58:60
	v_mad_u64_u32 v[192:193], null, v194, s42, v[200:201]
	.loc	1 58 30 is_stmt 0               ; persistent_matmul.py:58:30
	v_ashrrev_i32_e32 v193, 31, v192
	s_delay_alu instid0(VALU_DEP_1) | instskip(NEXT) | instid1(VALU_DEP_1)
	v_lshlrev_b64 v[192:193], 1, v[192:193]
	v_add_co_u32 v192, vcc_lo, s28, v192
	s_delay_alu instid0(VALU_DEP_1)
	v_add_co_ci_u32_e64 v193, null, s29, v193, vcc_lo
	.loc	1 61 24 is_stmt 1               ; persistent_matmul.py:61:24
	global_load_u16 v229, v[192:193], off
.LBB0_223:                              ;   in Loop: Header=BB0_133 Depth=1
	.loc	1 0 24 is_stmt 0                ; persistent_matmul.py:0:24
	s_or_b32 exec_lo, exec_lo, s0
	.loc	1 61 64                         ; persistent_matmul.py:61:64
	scratch_load_b32 v192, off, off offset:208 ; 4-byte Folded Reload
	v_dual_mov_b32 v232, 0 :: v_dual_mov_b32 v253, 0
	.loc	1 61 24                         ; persistent_matmul.py:61:24
	s_mov_b32 s0, exec_lo
	.loc	1 61 64                         ; persistent_matmul.py:61:64
	s_waitcnt vmcnt(0)
	v_cmpx_gt_i32_e64 s2, v192
	.loc	1 61 24                         ; persistent_matmul.py:61:24
	s_cbranch_execz .LBB0_225
; %bb.224:                              ;   in Loop: Header=BB0_133 Depth=1
	.loc	1 56 41 is_stmt 1               ; persistent_matmul.py:56:41
	scratch_load_b32 v192, off, off offset:208 ; 4-byte Folded Reload
	s_waitcnt vmcnt(0)
	v_or_b32_e32 v194, s1, v192
	s_delay_alu instid0(VALU_DEP_1) | instskip(NEXT) | instid1(VALU_DEP_1)
	.loc	1 58 60                         ; persistent_matmul.py:58:60
	v_mad_u64_u32 v[192:193], null, v194, s42, v[200:201]
	.loc	1 58 30 is_stmt 0               ; persistent_matmul.py:58:30
	v_ashrrev_i32_e32 v193, 31, v192
	s_delay_alu instid0(VALU_DEP_1) | instskip(NEXT) | instid1(VALU_DEP_1)
	v_lshlrev_b64 v[192:193], 1, v[192:193]
	v_add_co_u32 v192, vcc_lo, s28, v192
	s_delay_alu instid0(VALU_DEP_1)
	v_add_co_ci_u32_e64 v193, null, s29, v193, vcc_lo
	.loc	1 61 24 is_stmt 1               ; persistent_matmul.py:61:24
	global_load_u16 v253, v[192:193], off
.LBB0_225:                              ;   in Loop: Header=BB0_133 Depth=1
	.loc	1 0 24 is_stmt 0                ; persistent_matmul.py:0:24
	s_or_b32 exec_lo, exec_lo, s0
	.loc	1 61 64                         ; persistent_matmul.py:61:64
	scratch_load_b32 v192, off, off offset:212 ; 4-byte Folded Reload
	.loc	1 61 24                         ; persistent_matmul.py:61:24
	s_mov_b32 s0, exec_lo
	.loc	1 61 64                         ; persistent_matmul.py:61:64
	s_waitcnt vmcnt(0)
	v_cmpx_gt_i32_e64 s2, v192
	.loc	1 61 24                         ; persistent_matmul.py:61:24
	s_cbranch_execz .LBB0_227
; %bb.226:                              ;   in Loop: Header=BB0_133 Depth=1
	.loc	1 56 41 is_stmt 1               ; persistent_matmul.py:56:41
	scratch_load_b32 v192, off, off offset:212 ; 4-byte Folded Reload
	s_waitcnt vmcnt(0)
	v_or_b32_e32 v194, s1, v192
	s_delay_alu instid0(VALU_DEP_1) | instskip(NEXT) | instid1(VALU_DEP_1)
	.loc	1 58 60                         ; persistent_matmul.py:58:60
	v_mad_u64_u32 v[192:193], null, v194, s42, v[200:201]
	.loc	1 58 30 is_stmt 0               ; persistent_matmul.py:58:30
	v_ashrrev_i32_e32 v193, 31, v192
	s_delay_alu instid0(VALU_DEP_1) | instskip(NEXT) | instid1(VALU_DEP_1)
	v_lshlrev_b64 v[192:193], 1, v[192:193]
	v_add_co_u32 v192, vcc_lo, s28, v192
	s_delay_alu instid0(VALU_DEP_1)
	v_add_co_ci_u32_e64 v193, null, s29, v193, vcc_lo
	.loc	1 61 24 is_stmt 1               ; persistent_matmul.py:61:24
	global_load_u16 v232, v[192:193], off
.LBB0_227:                              ;   in Loop: Header=BB0_133 Depth=1
	.loc	1 0 24 is_stmt 0                ; persistent_matmul.py:0:24
	s_or_b32 exec_lo, exec_lo, s0
	.loc	1 61 64                         ; persistent_matmul.py:61:64
	scratch_load_b32 v192, off, off offset:216 ; 4-byte Folded Reload
	v_mov_b32_e32 v216, 0
	v_mov_b32_e32 v252, 0
	.loc	1 61 24                         ; persistent_matmul.py:61:24
	s_mov_b32 s0, exec_lo
	.loc	1 61 64                         ; persistent_matmul.py:61:64
	s_waitcnt vmcnt(0)
	v_cmpx_gt_i32_e64 s2, v192
	.loc	1 61 24                         ; persistent_matmul.py:61:24
	s_cbranch_execz .LBB0_229
; %bb.228:                              ;   in Loop: Header=BB0_133 Depth=1
	.loc	1 56 41 is_stmt 1               ; persistent_matmul.py:56:41
	scratch_load_b32 v192, off, off offset:216 ; 4-byte Folded Reload
	s_waitcnt vmcnt(0)
	v_or_b32_e32 v194, s1, v192
	s_delay_alu instid0(VALU_DEP_1) | instskip(NEXT) | instid1(VALU_DEP_1)
	.loc	1 58 60                         ; persistent_matmul.py:58:60
	v_mad_u64_u32 v[192:193], null, v194, s42, v[200:201]
	.loc	1 58 30 is_stmt 0               ; persistent_matmul.py:58:30
	v_ashrrev_i32_e32 v193, 31, v192
	s_delay_alu instid0(VALU_DEP_1) | instskip(NEXT) | instid1(VALU_DEP_1)
	v_lshlrev_b64 v[192:193], 1, v[192:193]
	v_add_co_u32 v192, vcc_lo, s28, v192
	s_delay_alu instid0(VALU_DEP_1)
	v_add_co_ci_u32_e64 v193, null, s29, v193, vcc_lo
	.loc	1 61 24 is_stmt 1               ; persistent_matmul.py:61:24
	global_load_u16 v252, v[192:193], off
.LBB0_229:                              ;   in Loop: Header=BB0_133 Depth=1
	.loc	1 0 24 is_stmt 0                ; persistent_matmul.py:0:24
	s_or_b32 exec_lo, exec_lo, s0
	.loc	1 61 64                         ; persistent_matmul.py:61:64
	scratch_load_b32 v192, off, off offset:220 ; 4-byte Folded Reload
	.loc	1 61 24                         ; persistent_matmul.py:61:24
	s_mov_b32 s0, exec_lo
	.loc	1 61 64                         ; persistent_matmul.py:61:64
	s_waitcnt vmcnt(0)
	v_cmpx_gt_i32_e64 s2, v192
	.loc	1 61 24                         ; persistent_matmul.py:61:24
	s_cbranch_execz .LBB0_231
; %bb.230:                              ;   in Loop: Header=BB0_133 Depth=1
	.loc	1 56 41 is_stmt 1               ; persistent_matmul.py:56:41
	scratch_load_b32 v192, off, off offset:220 ; 4-byte Folded Reload
	s_waitcnt vmcnt(0)
	v_or_b32_e32 v194, s1, v192
	s_delay_alu instid0(VALU_DEP_1) | instskip(NEXT) | instid1(VALU_DEP_1)
	.loc	1 58 60                         ; persistent_matmul.py:58:60
	v_mad_u64_u32 v[192:193], null, v194, s42, v[200:201]
	.loc	1 58 30 is_stmt 0               ; persistent_matmul.py:58:30
	v_ashrrev_i32_e32 v193, 31, v192
	s_delay_alu instid0(VALU_DEP_1) | instskip(NEXT) | instid1(VALU_DEP_1)
	v_lshlrev_b64 v[192:193], 1, v[192:193]
	v_add_co_u32 v192, vcc_lo, s28, v192
	s_delay_alu instid0(VALU_DEP_1)
	v_add_co_ci_u32_e64 v193, null, s29, v193, vcc_lo
	.loc	1 61 24 is_stmt 1               ; persistent_matmul.py:61:24
	global_load_u16 v216, v[192:193], off
.LBB0_231:                              ;   in Loop: Header=BB0_133 Depth=1
	.loc	1 0 24 is_stmt 0                ; persistent_matmul.py:0:24
	s_or_b32 exec_lo, exec_lo, s0
	.loc	1 61 64                         ; persistent_matmul.py:61:64
	scratch_load_b32 v192, off, off offset:224 ; 4-byte Folded Reload
	v_dual_mov_b32 v217, 0 :: v_dual_mov_b32 v254, 0
	.loc	1 61 24                         ; persistent_matmul.py:61:24
	s_mov_b32 s0, exec_lo
	.loc	1 61 64                         ; persistent_matmul.py:61:64
	s_waitcnt vmcnt(0)
	v_cmpx_gt_i32_e64 s2, v192
	.loc	1 61 24                         ; persistent_matmul.py:61:24
	s_cbranch_execz .LBB0_233
; %bb.232:                              ;   in Loop: Header=BB0_133 Depth=1
	.loc	1 56 41 is_stmt 1               ; persistent_matmul.py:56:41
	scratch_load_b32 v192, off, off offset:224 ; 4-byte Folded Reload
	s_waitcnt vmcnt(0)
	v_or_b32_e32 v194, s1, v192
	s_delay_alu instid0(VALU_DEP_1) | instskip(NEXT) | instid1(VALU_DEP_1)
	.loc	1 58 60                         ; persistent_matmul.py:58:60
	v_mad_u64_u32 v[192:193], null, v194, s42, v[200:201]
	.loc	1 58 30 is_stmt 0               ; persistent_matmul.py:58:30
	v_ashrrev_i32_e32 v193, 31, v192
	s_delay_alu instid0(VALU_DEP_1) | instskip(NEXT) | instid1(VALU_DEP_1)
	v_lshlrev_b64 v[192:193], 1, v[192:193]
	v_add_co_u32 v192, vcc_lo, s28, v192
	s_delay_alu instid0(VALU_DEP_1)
	v_add_co_ci_u32_e64 v193, null, s29, v193, vcc_lo
	.loc	1 61 24 is_stmt 1               ; persistent_matmul.py:61:24
	global_load_u16 v254, v[192:193], off
.LBB0_233:                              ;   in Loop: Header=BB0_133 Depth=1
	.loc	1 0 24 is_stmt 0                ; persistent_matmul.py:0:24
	s_or_b32 exec_lo, exec_lo, s0
	.loc	1 61 64                         ; persistent_matmul.py:61:64
	scratch_load_b32 v192, off, off offset:228 ; 4-byte Folded Reload
	.loc	1 61 24                         ; persistent_matmul.py:61:24
	s_mov_b32 s0, exec_lo
	.loc	1 61 64                         ; persistent_matmul.py:61:64
	s_waitcnt vmcnt(0)
	v_cmpx_gt_i32_e64 s2, v192
	.loc	1 61 24                         ; persistent_matmul.py:61:24
	s_cbranch_execz .LBB0_235
; %bb.234:                              ;   in Loop: Header=BB0_133 Depth=1
	.loc	1 56 41 is_stmt 1               ; persistent_matmul.py:56:41
	scratch_load_b32 v192, off, off offset:228 ; 4-byte Folded Reload
	s_waitcnt vmcnt(0)
	v_or_b32_e32 v194, s1, v192
	s_delay_alu instid0(VALU_DEP_1) | instskip(NEXT) | instid1(VALU_DEP_1)
	.loc	1 58 60                         ; persistent_matmul.py:58:60
	v_mad_u64_u32 v[192:193], null, v194, s42, v[200:201]
	.loc	1 58 30 is_stmt 0               ; persistent_matmul.py:58:30
	v_ashrrev_i32_e32 v193, 31, v192
	s_delay_alu instid0(VALU_DEP_1) | instskip(NEXT) | instid1(VALU_DEP_1)
	v_lshlrev_b64 v[192:193], 1, v[192:193]
	v_add_co_u32 v192, vcc_lo, s28, v192
	s_delay_alu instid0(VALU_DEP_1)
	v_add_co_ci_u32_e64 v193, null, s29, v193, vcc_lo
	.loc	1 61 24 is_stmt 1               ; persistent_matmul.py:61:24
	global_load_u16 v217, v[192:193], off
.LBB0_235:                              ;   in Loop: Header=BB0_133 Depth=1
	.loc	1 0 24 is_stmt 0                ; persistent_matmul.py:0:24
	s_or_b32 exec_lo, exec_lo, s0
	.loc	1 61 64                         ; persistent_matmul.py:61:64
	scratch_load_b32 v192, off, off offset:232 ; 4-byte Folded Reload
	v_mov_b32_e32 v230, 0
	v_mov_b32_e32 v248, 0
	.loc	1 61 24                         ; persistent_matmul.py:61:24
	s_mov_b32 s0, exec_lo
	.loc	1 61 64                         ; persistent_matmul.py:61:64
	s_waitcnt vmcnt(0)
	v_cmpx_gt_i32_e64 s2, v192
	.loc	1 61 24                         ; persistent_matmul.py:61:24
	s_cbranch_execz .LBB0_237
; %bb.236:                              ;   in Loop: Header=BB0_133 Depth=1
	.loc	1 56 41 is_stmt 1               ; persistent_matmul.py:56:41
	scratch_load_b32 v192, off, off offset:232 ; 4-byte Folded Reload
	s_waitcnt vmcnt(0)
	v_or_b32_e32 v194, s1, v192
	s_delay_alu instid0(VALU_DEP_1) | instskip(NEXT) | instid1(VALU_DEP_1)
	.loc	1 58 60                         ; persistent_matmul.py:58:60
	v_mad_u64_u32 v[192:193], null, v194, s42, v[200:201]
	.loc	1 58 30 is_stmt 0               ; persistent_matmul.py:58:30
	v_ashrrev_i32_e32 v193, 31, v192
	s_delay_alu instid0(VALU_DEP_1) | instskip(NEXT) | instid1(VALU_DEP_1)
	v_lshlrev_b64 v[192:193], 1, v[192:193]
	v_add_co_u32 v192, vcc_lo, s28, v192
	s_delay_alu instid0(VALU_DEP_1)
	v_add_co_ci_u32_e64 v193, null, s29, v193, vcc_lo
	.loc	1 61 24 is_stmt 1               ; persistent_matmul.py:61:24
	global_load_u16 v248, v[192:193], off
.LBB0_237:                              ;   in Loop: Header=BB0_133 Depth=1
	.loc	1 0 24 is_stmt 0                ; persistent_matmul.py:0:24
	s_or_b32 exec_lo, exec_lo, s0
	.loc	1 61 64                         ; persistent_matmul.py:61:64
	scratch_load_b32 v192, off, off offset:236 ; 4-byte Folded Reload
	.loc	1 61 24                         ; persistent_matmul.py:61:24
	s_mov_b32 s0, exec_lo
	.loc	1 61 64                         ; persistent_matmul.py:61:64
	s_waitcnt vmcnt(0)
	v_cmpx_gt_i32_e64 s2, v192
	.loc	1 61 24                         ; persistent_matmul.py:61:24
	s_cbranch_execz .LBB0_239
; %bb.238:                              ;   in Loop: Header=BB0_133 Depth=1
	.loc	1 56 41 is_stmt 1               ; persistent_matmul.py:56:41
	scratch_load_b32 v192, off, off offset:236 ; 4-byte Folded Reload
	s_waitcnt vmcnt(0)
	v_or_b32_e32 v194, s1, v192
	s_delay_alu instid0(VALU_DEP_1) | instskip(NEXT) | instid1(VALU_DEP_1)
	.loc	1 58 60                         ; persistent_matmul.py:58:60
	v_mad_u64_u32 v[192:193], null, v194, s42, v[200:201]
	.loc	1 58 30 is_stmt 0               ; persistent_matmul.py:58:30
	v_ashrrev_i32_e32 v193, 31, v192
	s_delay_alu instid0(VALU_DEP_1) | instskip(NEXT) | instid1(VALU_DEP_1)
	v_lshlrev_b64 v[192:193], 1, v[192:193]
	v_add_co_u32 v192, vcc_lo, s28, v192
	s_delay_alu instid0(VALU_DEP_1)
	v_add_co_ci_u32_e64 v193, null, s29, v193, vcc_lo
	.loc	1 61 24 is_stmt 1               ; persistent_matmul.py:61:24
	global_load_u16 v230, v[192:193], off
.LBB0_239:                              ;   in Loop: Header=BB0_133 Depth=1
	.loc	1 0 24 is_stmt 0                ; persistent_matmul.py:0:24
	s_or_b32 exec_lo, exec_lo, s0
	.loc	1 61 64                         ; persistent_matmul.py:61:64
	scratch_load_b32 v192, off, off offset:240 ; 4-byte Folded Reload
	v_dual_mov_b32 v234, 0 :: v_dual_mov_b32 v209, 0
	.loc	1 61 24                         ; persistent_matmul.py:61:24
	s_mov_b32 s0, exec_lo
	.loc	1 61 64                         ; persistent_matmul.py:61:64
	s_waitcnt vmcnt(0)
	v_cmpx_gt_i32_e64 s2, v192
	.loc	1 61 24                         ; persistent_matmul.py:61:24
	s_cbranch_execz .LBB0_241
; %bb.240:                              ;   in Loop: Header=BB0_133 Depth=1
	.loc	1 56 41 is_stmt 1               ; persistent_matmul.py:56:41
	scratch_load_b32 v192, off, off offset:240 ; 4-byte Folded Reload
	s_waitcnt vmcnt(0)
	v_or_b32_e32 v194, s1, v192
	s_delay_alu instid0(VALU_DEP_1) | instskip(NEXT) | instid1(VALU_DEP_1)
	.loc	1 58 60                         ; persistent_matmul.py:58:60
	v_mad_u64_u32 v[192:193], null, v194, s42, v[200:201]
	.loc	1 58 30 is_stmt 0               ; persistent_matmul.py:58:30
	v_ashrrev_i32_e32 v193, 31, v192
	s_delay_alu instid0(VALU_DEP_1) | instskip(NEXT) | instid1(VALU_DEP_1)
	v_lshlrev_b64 v[192:193], 1, v[192:193]
	v_add_co_u32 v192, vcc_lo, s28, v192
	s_delay_alu instid0(VALU_DEP_1)
	v_add_co_ci_u32_e64 v193, null, s29, v193, vcc_lo
	.loc	1 61 24 is_stmt 1               ; persistent_matmul.py:61:24
	global_load_u16 v209, v[192:193], off
.LBB0_241:                              ;   in Loop: Header=BB0_133 Depth=1
	.loc	1 0 24 is_stmt 0                ; persistent_matmul.py:0:24
	s_or_b32 exec_lo, exec_lo, s0
	.loc	1 61 64                         ; persistent_matmul.py:61:64
	scratch_load_b32 v192, off, off offset:244 ; 4-byte Folded Reload
	.loc	1 61 24                         ; persistent_matmul.py:61:24
	s_mov_b32 s0, exec_lo
	.loc	1 61 64                         ; persistent_matmul.py:61:64
	s_waitcnt vmcnt(0)
	v_cmpx_gt_i32_e64 s2, v192
	.loc	1 61 24                         ; persistent_matmul.py:61:24
	s_cbranch_execz .LBB0_243
; %bb.242:                              ;   in Loop: Header=BB0_133 Depth=1
	.loc	1 56 41 is_stmt 1               ; persistent_matmul.py:56:41
	scratch_load_b32 v192, off, off offset:244 ; 4-byte Folded Reload
	s_waitcnt vmcnt(0)
	v_or_b32_e32 v194, s1, v192
	s_delay_alu instid0(VALU_DEP_1) | instskip(NEXT) | instid1(VALU_DEP_1)
	.loc	1 58 60                         ; persistent_matmul.py:58:60
	v_mad_u64_u32 v[192:193], null, v194, s42, v[200:201]
	.loc	1 58 30 is_stmt 0               ; persistent_matmul.py:58:30
	v_ashrrev_i32_e32 v193, 31, v192
	s_delay_alu instid0(VALU_DEP_1) | instskip(NEXT) | instid1(VALU_DEP_1)
	v_lshlrev_b64 v[192:193], 1, v[192:193]
	v_add_co_u32 v192, vcc_lo, s28, v192
	s_delay_alu instid0(VALU_DEP_1)
	v_add_co_ci_u32_e64 v193, null, s29, v193, vcc_lo
	.loc	1 61 24 is_stmt 1               ; persistent_matmul.py:61:24
	global_load_u16 v234, v[192:193], off
.LBB0_243:                              ;   in Loop: Header=BB0_133 Depth=1
	.loc	1 0 24 is_stmt 0                ; persistent_matmul.py:0:24
	s_or_b32 exec_lo, exec_lo, s0
	.loc	1 61 64                         ; persistent_matmul.py:61:64
	scratch_load_b32 v192, off, off offset:248 ; 4-byte Folded Reload
	v_mov_b32_e32 v249, 0
	v_mov_b32_e32 v211, 0
	.loc	1 61 24                         ; persistent_matmul.py:61:24
	s_mov_b32 s0, exec_lo
	.loc	1 61 64                         ; persistent_matmul.py:61:64
	s_waitcnt vmcnt(0)
	v_cmpx_gt_i32_e64 s2, v192
	.loc	1 61 24                         ; persistent_matmul.py:61:24
	s_cbranch_execz .LBB0_245
; %bb.244:                              ;   in Loop: Header=BB0_133 Depth=1
	.loc	1 56 41 is_stmt 1               ; persistent_matmul.py:56:41
	scratch_load_b32 v192, off, off offset:248 ; 4-byte Folded Reload
	s_waitcnt vmcnt(0)
	v_or_b32_e32 v194, s1, v192
	s_delay_alu instid0(VALU_DEP_1) | instskip(NEXT) | instid1(VALU_DEP_1)
	.loc	1 58 60                         ; persistent_matmul.py:58:60
	v_mad_u64_u32 v[192:193], null, v194, s42, v[200:201]
	.loc	1 58 30 is_stmt 0               ; persistent_matmul.py:58:30
	v_ashrrev_i32_e32 v193, 31, v192
	s_delay_alu instid0(VALU_DEP_1) | instskip(NEXT) | instid1(VALU_DEP_1)
	v_lshlrev_b64 v[192:193], 1, v[192:193]
	v_add_co_u32 v192, vcc_lo, s28, v192
	s_delay_alu instid0(VALU_DEP_1)
	v_add_co_ci_u32_e64 v193, null, s29, v193, vcc_lo
	.loc	1 61 24 is_stmt 1               ; persistent_matmul.py:61:24
	global_load_u16 v211, v[192:193], off
.LBB0_245:                              ;   in Loop: Header=BB0_133 Depth=1
	.loc	1 0 24 is_stmt 0                ; persistent_matmul.py:0:24
	s_or_b32 exec_lo, exec_lo, s0
	.loc	1 61 64                         ; persistent_matmul.py:61:64
	scratch_load_b32 v192, off, off offset:252 ; 4-byte Folded Reload
	.loc	1 61 24                         ; persistent_matmul.py:61:24
	s_mov_b32 s0, exec_lo
	.loc	1 61 64                         ; persistent_matmul.py:61:64
	s_waitcnt vmcnt(0)
	v_cmpx_gt_i32_e64 s2, v192
	.loc	1 61 24                         ; persistent_matmul.py:61:24
	s_cbranch_execz .LBB0_247
; %bb.246:                              ;   in Loop: Header=BB0_133 Depth=1
	.loc	1 56 41 is_stmt 1               ; persistent_matmul.py:56:41
	scratch_load_b32 v192, off, off offset:252 ; 4-byte Folded Reload
	s_waitcnt vmcnt(0)
	v_or_b32_e32 v194, s1, v192
	s_delay_alu instid0(VALU_DEP_1) | instskip(NEXT) | instid1(VALU_DEP_1)
	.loc	1 58 60                         ; persistent_matmul.py:58:60
	v_mad_u64_u32 v[192:193], null, v194, s42, v[200:201]
	.loc	1 58 30 is_stmt 0               ; persistent_matmul.py:58:30
	v_ashrrev_i32_e32 v193, 31, v192
	s_delay_alu instid0(VALU_DEP_1) | instskip(NEXT) | instid1(VALU_DEP_1)
	v_lshlrev_b64 v[192:193], 1, v[192:193]
	v_add_co_u32 v192, vcc_lo, s28, v192
	s_delay_alu instid0(VALU_DEP_1)
	v_add_co_ci_u32_e64 v193, null, s29, v193, vcc_lo
	.loc	1 61 24 is_stmt 1               ; persistent_matmul.py:61:24
	global_load_u16 v249, v[192:193], off
.LBB0_247:                              ;   in Loop: Header=BB0_133 Depth=1
	.loc	1 0 24 is_stmt 0                ; persistent_matmul.py:0:24
	s_or_b32 exec_lo, exec_lo, s0
	.loc	1 61 64                         ; persistent_matmul.py:61:64
	scratch_load_b32 v192, off, off offset:256 ; 4-byte Folded Reload
	v_dual_mov_b32 v218, 0 :: v_dual_mov_b32 v219, 0
	.loc	1 61 24                         ; persistent_matmul.py:61:24
	s_mov_b32 s0, exec_lo
	.loc	1 61 64                         ; persistent_matmul.py:61:64
	s_waitcnt vmcnt(0)
	v_cmpx_gt_i32_e64 s2, v192
	.loc	1 61 24                         ; persistent_matmul.py:61:24
	s_cbranch_execz .LBB0_249
; %bb.248:                              ;   in Loop: Header=BB0_133 Depth=1
	.loc	1 56 41 is_stmt 1               ; persistent_matmul.py:56:41
	scratch_load_b32 v192, off, off offset:256 ; 4-byte Folded Reload
	s_waitcnt vmcnt(0)
	v_or_b32_e32 v194, s1, v192
	s_delay_alu instid0(VALU_DEP_1) | instskip(NEXT) | instid1(VALU_DEP_1)
	.loc	1 58 60                         ; persistent_matmul.py:58:60
	v_mad_u64_u32 v[192:193], null, v194, s42, v[200:201]
	.loc	1 58 30 is_stmt 0               ; persistent_matmul.py:58:30
	v_ashrrev_i32_e32 v193, 31, v192
	s_delay_alu instid0(VALU_DEP_1) | instskip(NEXT) | instid1(VALU_DEP_1)
	v_lshlrev_b64 v[192:193], 1, v[192:193]
	v_add_co_u32 v192, vcc_lo, s28, v192
	s_delay_alu instid0(VALU_DEP_1)
	v_add_co_ci_u32_e64 v193, null, s29, v193, vcc_lo
	.loc	1 61 24 is_stmt 1               ; persistent_matmul.py:61:24
	global_load_u16 v219, v[192:193], off
.LBB0_249:                              ;   in Loop: Header=BB0_133 Depth=1
	.loc	1 0 24 is_stmt 0                ; persistent_matmul.py:0:24
	s_or_b32 exec_lo, exec_lo, s0
	.loc	1 61 64                         ; persistent_matmul.py:61:64
	scratch_load_b32 v192, off, off offset:260 ; 4-byte Folded Reload
	.loc	1 61 24                         ; persistent_matmul.py:61:24
	s_mov_b32 s0, exec_lo
	.loc	1 61 64                         ; persistent_matmul.py:61:64
	s_waitcnt vmcnt(0)
	v_cmpx_gt_i32_e64 s2, v192
	.loc	1 61 24                         ; persistent_matmul.py:61:24
	s_cbranch_execz .LBB0_251
; %bb.250:                              ;   in Loop: Header=BB0_133 Depth=1
	.loc	1 56 41 is_stmt 1               ; persistent_matmul.py:56:41
	scratch_load_b32 v192, off, off offset:260 ; 4-byte Folded Reload
	s_waitcnt vmcnt(0)
	v_or_b32_e32 v194, s1, v192
	s_delay_alu instid0(VALU_DEP_1) | instskip(NEXT) | instid1(VALU_DEP_1)
	.loc	1 58 60                         ; persistent_matmul.py:58:60
	v_mad_u64_u32 v[192:193], null, v194, s42, v[200:201]
	.loc	1 58 30 is_stmt 0               ; persistent_matmul.py:58:30
	v_ashrrev_i32_e32 v193, 31, v192
	s_delay_alu instid0(VALU_DEP_1) | instskip(NEXT) | instid1(VALU_DEP_1)
	v_lshlrev_b64 v[192:193], 1, v[192:193]
	v_add_co_u32 v192, vcc_lo, s28, v192
	s_delay_alu instid0(VALU_DEP_1)
	v_add_co_ci_u32_e64 v193, null, s29, v193, vcc_lo
	.loc	1 61 24 is_stmt 1               ; persistent_matmul.py:61:24
	global_load_u16 v218, v[192:193], off
.LBB0_251:                              ;   in Loop: Header=BB0_133 Depth=1
	.loc	1 0 24 is_stmt 0                ; persistent_matmul.py:0:24
	s_or_b32 exec_lo, exec_lo, s0
	.loc	1 61 64                         ; persistent_matmul.py:61:64
	scratch_load_b32 v192, off, off offset:264 ; 4-byte Folded Reload
	v_dual_mov_b32 v212, 0 :: v_dual_mov_b32 v247, 0
	.loc	1 61 24                         ; persistent_matmul.py:61:24
	s_mov_b32 s0, exec_lo
	.loc	1 61 64                         ; persistent_matmul.py:61:64
	s_waitcnt vmcnt(0)
	v_cmpx_gt_i32_e64 s2, v192
	.loc	1 61 24                         ; persistent_matmul.py:61:24
	s_cbranch_execz .LBB0_253
; %bb.252:                              ;   in Loop: Header=BB0_133 Depth=1
	.loc	1 56 41 is_stmt 1               ; persistent_matmul.py:56:41
	scratch_load_b32 v192, off, off offset:264 ; 4-byte Folded Reload
	s_waitcnt vmcnt(0)
	v_or_b32_e32 v194, s1, v192
	s_delay_alu instid0(VALU_DEP_1) | instskip(NEXT) | instid1(VALU_DEP_1)
	.loc	1 58 60                         ; persistent_matmul.py:58:60
	v_mad_u64_u32 v[192:193], null, v194, s42, v[200:201]
	.loc	1 58 30 is_stmt 0               ; persistent_matmul.py:58:30
	v_ashrrev_i32_e32 v193, 31, v192
	s_delay_alu instid0(VALU_DEP_1) | instskip(NEXT) | instid1(VALU_DEP_1)
	v_lshlrev_b64 v[192:193], 1, v[192:193]
	v_add_co_u32 v192, vcc_lo, s28, v192
	s_delay_alu instid0(VALU_DEP_1)
	v_add_co_ci_u32_e64 v193, null, s29, v193, vcc_lo
	.loc	1 61 24 is_stmt 1               ; persistent_matmul.py:61:24
	global_load_u16 v247, v[192:193], off
.LBB0_253:                              ;   in Loop: Header=BB0_133 Depth=1
	.loc	1 0 24 is_stmt 0                ; persistent_matmul.py:0:24
	s_or_b32 exec_lo, exec_lo, s0
	.loc	1 61 64                         ; persistent_matmul.py:61:64
	scratch_load_b32 v192, off, off offset:268 ; 4-byte Folded Reload
	.loc	1 61 24                         ; persistent_matmul.py:61:24
	s_mov_b32 s0, exec_lo
	.loc	1 61 64                         ; persistent_matmul.py:61:64
	s_waitcnt vmcnt(0)
	v_cmpx_gt_i32_e64 s2, v192
	.loc	1 61 24                         ; persistent_matmul.py:61:24
	s_cbranch_execz .LBB0_255
; %bb.254:                              ;   in Loop: Header=BB0_133 Depth=1
	.loc	1 56 41 is_stmt 1               ; persistent_matmul.py:56:41
	scratch_load_b32 v192, off, off offset:268 ; 4-byte Folded Reload
	s_waitcnt vmcnt(0)
	v_or_b32_e32 v194, s1, v192
	s_delay_alu instid0(VALU_DEP_1) | instskip(NEXT) | instid1(VALU_DEP_1)
	.loc	1 58 60                         ; persistent_matmul.py:58:60
	v_mad_u64_u32 v[192:193], null, v194, s42, v[200:201]
	.loc	1 58 30 is_stmt 0               ; persistent_matmul.py:58:30
	v_ashrrev_i32_e32 v193, 31, v192
	s_delay_alu instid0(VALU_DEP_1) | instskip(NEXT) | instid1(VALU_DEP_1)
	v_lshlrev_b64 v[192:193], 1, v[192:193]
	v_add_co_u32 v192, vcc_lo, s28, v192
	s_delay_alu instid0(VALU_DEP_1)
	v_add_co_ci_u32_e64 v193, null, s29, v193, vcc_lo
	.loc	1 61 24 is_stmt 1               ; persistent_matmul.py:61:24
	global_load_u16 v212, v[192:193], off
.LBB0_255:                              ;   in Loop: Header=BB0_133 Depth=1
	.loc	1 0 24 is_stmt 0                ; persistent_matmul.py:0:24
	s_or_b32 exec_lo, exec_lo, s0
	.loc	1 61 64                         ; persistent_matmul.py:61:64
	scratch_load_b32 v192, off, off offset:272 ; 4-byte Folded Reload
	v_mov_b32_e32 v231, 0
	v_mov_b32_e32 v251, 0
	.loc	1 61 24                         ; persistent_matmul.py:61:24
	s_mov_b32 s0, exec_lo
	.loc	1 61 64                         ; persistent_matmul.py:61:64
	s_waitcnt vmcnt(0)
	v_cmpx_gt_i32_e64 s2, v192
	.loc	1 61 24                         ; persistent_matmul.py:61:24
	s_cbranch_execz .LBB0_257
; %bb.256:                              ;   in Loop: Header=BB0_133 Depth=1
	.loc	1 56 41 is_stmt 1               ; persistent_matmul.py:56:41
	scratch_load_b32 v192, off, off offset:272 ; 4-byte Folded Reload
	s_waitcnt vmcnt(0)
	v_or_b32_e32 v194, s1, v192
	s_delay_alu instid0(VALU_DEP_1) | instskip(NEXT) | instid1(VALU_DEP_1)
	.loc	1 58 60                         ; persistent_matmul.py:58:60
	v_mad_u64_u32 v[192:193], null, v194, s42, v[200:201]
	.loc	1 58 30 is_stmt 0               ; persistent_matmul.py:58:30
	v_ashrrev_i32_e32 v193, 31, v192
	s_delay_alu instid0(VALU_DEP_1) | instskip(NEXT) | instid1(VALU_DEP_1)
	v_lshlrev_b64 v[192:193], 1, v[192:193]
	v_add_co_u32 v192, vcc_lo, s28, v192
	s_delay_alu instid0(VALU_DEP_1)
	v_add_co_ci_u32_e64 v193, null, s29, v193, vcc_lo
	.loc	1 61 24 is_stmt 1               ; persistent_matmul.py:61:24
	global_load_u16 v251, v[192:193], off
.LBB0_257:                              ;   in Loop: Header=BB0_133 Depth=1
	.loc	1 0 24 is_stmt 0                ; persistent_matmul.py:0:24
	s_or_b32 exec_lo, exec_lo, s0
	.loc	1 61 64                         ; persistent_matmul.py:61:64
	scratch_load_b32 v192, off, off offset:276 ; 4-byte Folded Reload
	.loc	1 61 24                         ; persistent_matmul.py:61:24
	s_mov_b32 s0, exec_lo
	.loc	1 61 64                         ; persistent_matmul.py:61:64
	s_waitcnt vmcnt(0)
	v_cmpx_gt_i32_e64 s2, v192
	.loc	1 61 24                         ; persistent_matmul.py:61:24
	s_cbranch_execz .LBB0_259
; %bb.258:                              ;   in Loop: Header=BB0_133 Depth=1
	.loc	1 56 41 is_stmt 1               ; persistent_matmul.py:56:41
	scratch_load_b32 v192, off, off offset:276 ; 4-byte Folded Reload
	s_waitcnt vmcnt(0)
	v_or_b32_e32 v194, s1, v192
	s_delay_alu instid0(VALU_DEP_1) | instskip(NEXT) | instid1(VALU_DEP_1)
	.loc	1 58 60                         ; persistent_matmul.py:58:60
	v_mad_u64_u32 v[192:193], null, v194, s42, v[200:201]
	.loc	1 58 30 is_stmt 0               ; persistent_matmul.py:58:30
	v_ashrrev_i32_e32 v193, 31, v192
	s_delay_alu instid0(VALU_DEP_1) | instskip(NEXT) | instid1(VALU_DEP_1)
	v_lshlrev_b64 v[192:193], 1, v[192:193]
	v_add_co_u32 v192, vcc_lo, s28, v192
	s_delay_alu instid0(VALU_DEP_1)
	v_add_co_ci_u32_e64 v193, null, s29, v193, vcc_lo
	.loc	1 61 24 is_stmt 1               ; persistent_matmul.py:61:24
	global_load_u16 v231, v[192:193], off
.LBB0_259:                              ;   in Loop: Header=BB0_133 Depth=1
	.loc	1 0 24 is_stmt 0                ; persistent_matmul.py:0:24
	s_or_b32 exec_lo, exec_lo, s0
	.loc	1 61 64                         ; persistent_matmul.py:61:64
	scratch_load_b32 v192, off, off offset:152 ; 4-byte Folded Reload
	v_mov_b32_e32 v213, 0
	v_mov_b32_e32 v255, 0
	.loc	1 61 24                         ; persistent_matmul.py:61:24
	s_mov_b32 s0, exec_lo
	.loc	1 61 64                         ; persistent_matmul.py:61:64
	s_waitcnt vmcnt(0)
	v_cmpx_gt_i32_e64 s2, v192
	.loc	1 61 24                         ; persistent_matmul.py:61:24
	s_cbranch_execz .LBB0_261
; %bb.260:                              ;   in Loop: Header=BB0_133 Depth=1
	.loc	1 56 41 is_stmt 1               ; persistent_matmul.py:56:41
	scratch_load_b32 v192, off, off offset:152 ; 4-byte Folded Reload
	s_waitcnt vmcnt(0)
	v_or_b32_e32 v194, s1, v192
	s_delay_alu instid0(VALU_DEP_1) | instskip(NEXT) | instid1(VALU_DEP_1)
	.loc	1 58 60                         ; persistent_matmul.py:58:60
	v_mad_u64_u32 v[192:193], null, v194, s42, v[200:201]
	.loc	1 58 30 is_stmt 0               ; persistent_matmul.py:58:30
	v_ashrrev_i32_e32 v193, 31, v192
	s_delay_alu instid0(VALU_DEP_1) | instskip(NEXT) | instid1(VALU_DEP_1)
	v_lshlrev_b64 v[192:193], 1, v[192:193]
	v_add_co_u32 v192, vcc_lo, s28, v192
	s_delay_alu instid0(VALU_DEP_1)
	v_add_co_ci_u32_e64 v193, null, s29, v193, vcc_lo
	.loc	1 61 24 is_stmt 1               ; persistent_matmul.py:61:24
	global_load_u16 v255, v[192:193], off
.LBB0_261:                              ;   in Loop: Header=BB0_133 Depth=1
	.loc	1 0 24 is_stmt 0                ; persistent_matmul.py:0:24
	s_or_b32 exec_lo, exec_lo, s0
	.loc	1 61 64                         ; persistent_matmul.py:61:64
	scratch_load_b32 v192, off, off offset:156 ; 4-byte Folded Reload
	.loc	1 61 24                         ; persistent_matmul.py:61:24
	s_mov_b32 s0, exec_lo
	.loc	1 61 64                         ; persistent_matmul.py:61:64
	s_waitcnt vmcnt(0)
	v_cmpx_gt_i32_e64 s2, v192
	.loc	1 61 24                         ; persistent_matmul.py:61:24
	s_cbranch_execz .LBB0_263
; %bb.262:                              ;   in Loop: Header=BB0_133 Depth=1
	.loc	1 56 41 is_stmt 1               ; persistent_matmul.py:56:41
	scratch_load_b32 v192, off, off offset:156 ; 4-byte Folded Reload
	s_waitcnt vmcnt(0)
	v_or_b32_e32 v194, s1, v192
	s_delay_alu instid0(VALU_DEP_1) | instskip(NEXT) | instid1(VALU_DEP_1)
	.loc	1 58 60                         ; persistent_matmul.py:58:60
	v_mad_u64_u32 v[192:193], null, v194, s42, v[200:201]
	.loc	1 58 30 is_stmt 0               ; persistent_matmul.py:58:30
	v_ashrrev_i32_e32 v193, 31, v192
	s_delay_alu instid0(VALU_DEP_1) | instskip(NEXT) | instid1(VALU_DEP_1)
	v_lshlrev_b64 v[192:193], 1, v[192:193]
	v_add_co_u32 v192, vcc_lo, s28, v192
	s_delay_alu instid0(VALU_DEP_1)
	v_add_co_ci_u32_e64 v193, null, s29, v193, vcc_lo
	.loc	1 61 24 is_stmt 1               ; persistent_matmul.py:61:24
	global_load_u16 v213, v[192:193], off
.LBB0_263:                              ;   in Loop: Header=BB0_133 Depth=1
	.loc	1 0 24 is_stmt 0                ; persistent_matmul.py:0:24
	s_or_b32 exec_lo, exec_lo, s0
	.loc	1 61 24                         ; persistent_matmul.py:61:24
	ds_load_u16 v198, v220 offset:19456
	ds_load_u16 v199, v220 offset:19968
	;; [unrolled: 1-line block ×16, first 2 shown]
	.loc	1 43 59 is_stmt 1               ; persistent_matmul.py:43:59
	s_and_not1_b32 vcc_lo, exec_lo, s47
	.loc	1 61 24                         ; persistent_matmul.py:61:24
	s_waitcnt lgkmcnt(5)
	ds_load_u16_d16_hi v203, v220 offset:21888
	ds_load_u16_d16_hi v198, v220 offset:19712
	;; [unrolled: 1-line block ×5, first 2 shown]
	ds_load_u16 v221, v220 offset:16512
	ds_load_u16_d16_hi v193, v220 offset:17152
	ds_load_u16_d16_hi v192, v220 offset:16640
	ds_load_u16 v223, v220 offset:17536
	ds_load_u16 v222, v220 offset:17024
	ds_load_u16_d16_hi v196, v220 offset:18688
	ds_load_u16_d16_hi v194, v220 offset:17664
	;; [unrolled: 1-line block ×3, first 2 shown]
	ds_load_u16 v227, v220 offset:19584
	ds_load_u16 v201, v220 offset:20608
	;; [unrolled: 1-line block ×3, first 2 shown]
	s_waitcnt lgkmcnt(10)
	ds_load_u16_d16_hi v221, v220 offset:16768
	ds_load_u16_d16_hi v224, v220 offset:18304
	s_waitcnt lgkmcnt(9)
	ds_load_u16_d16_hi v223, v220 offset:17792
	s_waitcnt lgkmcnt(9)
	ds_load_u16_d16_hi v222, v220 offset:17280
	ds_load_u16_d16_hi v226, v220 offset:19328
	s_waitcnt lgkmcnt(7)
	ds_load_u16_d16_hi v227, v220 offset:19840
	s_waitcnt lgkmcnt(6)
	ds_load_u16_d16_hi v228, v220 offset:20352
	ds_load_u16 v204, v220 offset:22144
	ds_load_u16_d16_hi v202, v220 offset:21376
	ds_load_u16_d16_hi v238, v220 offset:20736
	;; [unrolled: 1-line block ×3, first 2 shown]
	.loc	1 62 39                         ; persistent_matmul.py:62:39
	v_wmma_f32_16x16x16_f16 v[56:63], v[192:199], v[160:167], v[56:63]
	v_wmma_f32_16x16x16_f16 v[40:47], v[192:199], v[168:175], v[40:47]
	;; [unrolled: 1-line block ×4, first 2 shown]
	s_waitcnt lgkmcnt(4)
	v_wmma_f32_16x16x16_f16 v[48:55], v[221:228], v[160:167], v[48:55]
	.loc	1 61 24                         ; persistent_matmul.py:61:24
	ds_load_u16 v242, v220 offset:22528
	ds_load_u16 v241, v220 offset:22016
	;; [unrolled: 1-line block ×4, first 2 shown]
	.loc	1 62 39                         ; persistent_matmul.py:62:39
	v_wmma_f32_16x16x16_f16 v[32:39], v[221:228], v[168:175], v[32:39]
	v_wmma_f32_16x16x16_f16 v[16:23], v[221:228], v[176:183], v[16:23]
	;; [unrolled: 1-line block ×3, first 2 shown]
	.loc	1 61 24                         ; persistent_matmul.py:61:24
	s_waitcnt lgkmcnt(0)
	ds_load_u16_d16_hi v160, v220 offset:24960
	ds_load_u16 v168, v220 offset:24576
	ds_load_u16 v243, v220 offset:23040
	;; [unrolled: 1-line block ×7, first 2 shown]
	ds_load_u16_d16_hi v239, v220 offset:21248
	ds_load_u16_d16_hi v240, v220 offset:21760
	;; [unrolled: 1-line block ×5, first 2 shown]
	s_waitcnt lgkmcnt(10)
	ds_load_u16_d16_hi v243, v220 offset:23296
	s_waitcnt lgkmcnt(10)
	ds_load_u16_d16_hi v205, v220 offset:22912
	;; [unrolled: 2-line block ×3, first 2 shown]
	ds_load_u16_d16_hi v245, v220 offset:24320
	s_waitcnt lgkmcnt(11)
	ds_load_u16_d16_hi v208, v220 offset:24448
	ds_load_u16_d16_hi v168, v220 offset:24832
	ds_load_u16 v161, v220 offset:25216
	s_waitcnt lgkmcnt(13)
	ds_load_u16_d16_hi v207, v220 offset:23936
	s_waitcnt lgkmcnt(13)
	ds_load_u16_d16_hi v206, v220 offset:23424
	.loc	1 62 39                         ; persistent_matmul.py:62:39
	s_waitcnt lgkmcnt(5)
	v_wmma_f32_16x16x16_f16 v[56:63], v[238:245], v[128:135], v[56:63]
	v_wmma_f32_16x16x16_f16 v[40:47], v[238:245], v[136:143], v[40:47]
	;; [unrolled: 1-line block ×4, first 2 shown]
	s_waitcnt lgkmcnt(0)
	v_wmma_f32_16x16x16_f16 v[48:55], v[201:208], v[128:135], v[48:55]
	.loc	1 61 24                         ; persistent_matmul.py:61:24
	ds_load_u16 v128, v220 offset:28672
	ds_load_u16 v166, v220 offset:27776
	;; [unrolled: 1-line block ×7, first 2 shown]
	.loc	1 62 39                         ; persistent_matmul.py:62:39
	v_wmma_f32_16x16x16_f16 v[32:39], v[201:208], v[136:143], v[32:39]
	.loc	1 61 24                         ; persistent_matmul.py:61:24
	ds_load_u16 v140, v220 offset:30848
	ds_load_u16 v134, v220 offset:31744
	;; [unrolled: 1-line block ×9, first 2 shown]
	.loc	1 62 39                         ; persistent_matmul.py:62:39
	v_wmma_f32_16x16x16_f16 v[16:23], v[201:208], v[144:151], v[16:23]
	v_wmma_f32_16x16x16_f16 v[0:7], v[201:208], v[152:159], v[0:7]
	.loc	1 61 24                         ; persistent_matmul.py:61:24
	s_waitcnt lgkmcnt(14)
	ds_load_u16_d16_hi v166, v220 offset:28032
	ds_load_u16 v171, v220 offset:26112
	ds_load_u16 v172, v220 offset:26624
	;; [unrolled: 1-line block ×3, first 2 shown]
	s_waitcnt lgkmcnt(16)
	ds_load_u16_d16_hi v169, v220 offset:25344
	ds_load_u16_d16_hi v170, v220 offset:25856
	ds_load_u16 v162, v220 offset:25728
	s_waitcnt lgkmcnt(5)
	ds_load_u16_d16_hi v171, v220 offset:26368
	ds_load_u16 v164, v220 offset:26752
	ds_load_u16 v163, v220 offset:26240
	s_waitcnt lgkmcnt(7)
	ds_load_u16_d16_hi v172, v220 offset:26880
	ds_load_u16_d16_hi v173, v220 offset:27392
	;; [unrolled: 1-line block ×3, first 2 shown]
	s_waitcnt lgkmcnt(9)
	ds_load_u16_d16_hi v175, v220 offset:28416
	ds_load_u16 v167, v220 offset:28288
	ds_load_u16_d16_hi v161, v220 offset:25472
	s_waitcnt lgkmcnt(9)
	ds_load_u16_d16_hi v162, v220 offset:25984
	ds_load_u16_d16_hi v165, v220 offset:27520
	s_waitcnt lgkmcnt(9)
	ds_load_u16_d16_hi v164, v220 offset:27008
	s_waitcnt lgkmcnt(9)
	;; [unrolled: 2-line block ×3, first 2 shown]
	ds_load_u16_d16_hi v167, v220 offset:28544
	ds_load_u16 v136, v220 offset:28800
	.loc	1 62 39                         ; persistent_matmul.py:62:39
	v_wmma_f32_16x16x16_f16 v[56:63], v[168:175], v[96:103], v[56:63]
	v_wmma_f32_16x16x16_f16 v[40:47], v[168:175], v[104:111], v[40:47]
	v_wmma_f32_16x16x16_f16 v[24:31], v[168:175], v[112:119], v[24:31]
	v_wmma_f32_16x16x16_f16 v[8:15], v[168:175], v[120:127], v[8:15]
	.loc	1 61 24                         ; persistent_matmul.py:61:24
	ds_load_u16_d16_hi v140, v220 offset:31104
	ds_load_u16_d16_hi v128, v220 offset:28928
	;; [unrolled: 1-line block ×5, first 2 shown]
	ds_load_u16 v138, v220 offset:29824
	ds_load_u16 v137, v220 offset:29312
	ds_load_u16_d16_hi v130, v220 offset:29952
	ds_load_u16_d16_hi v131, v220 offset:30464
	;; [unrolled: 1-line block ×4, first 2 shown]
	ds_load_u16 v141, v220 offset:31360
	ds_load_u16 v142, v220 offset:31872
	;; [unrolled: 1-line block ×3, first 2 shown]
	s_waitcnt lgkmcnt(14)
	ds_load_u16_d16_hi v136, v220 offset:29056
	ds_load_u16_d16_hi v139, v220 offset:30592
	.loc	1 62 39                         ; persistent_matmul.py:62:39
	v_wmma_f32_16x16x16_f16 v[48:55], v[160:167], v[96:103], v[48:55]
	v_wmma_f32_16x16x16_f16 v[32:39], v[160:167], v[104:111], v[32:39]
	;; [unrolled: 1-line block ×4, first 2 shown]
	.loc	1 61 24                         ; persistent_matmul.py:61:24
	s_waitcnt lgkmcnt(10)
	ds_load_u16_d16_hi v138, v220 offset:30080
	s_waitcnt lgkmcnt(10)
	ds_load_u16_d16_hi v137, v220 offset:29568
	;; [unrolled: 2-line block ×5, first 2 shown]
	.loc	1 62 39                         ; persistent_matmul.py:62:39
	v_wmma_f32_16x16x16_f16 v[56:63], v[128:135], v[64:71], v[56:63]
	v_wmma_f32_16x16x16_f16 v[40:47], v[128:135], v[72:79], v[40:47]
	;; [unrolled: 1-line block ×4, first 2 shown]
	s_waitcnt lgkmcnt(0)
	v_wmma_f32_16x16x16_f16 v[48:55], v[136:143], v[64:71], v[48:55]
	v_wmma_f32_16x16x16_f16 v[32:39], v[136:143], v[72:79], v[32:39]
	;; [unrolled: 1-line block ×4, first 2 shown]
	.loc	1 43 59                         ; persistent_matmul.py:43:59
	s_cbranch_vccnz .LBB0_132
; %bb.264:                              ;   in Loop: Header=BB0_133 Depth=1
	.loc	1 64 21                         ; persistent_matmul.py:64:21
	s_addk_i32 s44, 0x130
	s_delay_alu instid0(SALU_CYCLE_1)
.Ltmp47:
	.loc	1 10 26                         ; persistent_matmul.py:10:26 @[ persistent_matmul.py:65:90 ]
	s_abs_i32 s0, s44
	s_ashr_i32 s2, s44, 31
	s_mul_hi_u32 s1, s0, s37
	s_xor_b32 s4, s2, s36
	s_mul_i32 s3, s1, s34
	s_add_i32 s5, s1, 1
	s_sub_i32 s3, s0, s3
	s_delay_alu instid0(SALU_CYCLE_1)
	s_sub_i32 s6, s3, s34
	s_cmp_ge_u32 s3, s34
	s_cselect_b32 s1, s5, s1
	s_cselect_b32 s3, s6, s3
	s_add_i32 s5, s1, 1
	s_cmp_ge_u32 s3, s34
	s_cselect_b32 s1, s5, s1
	s_delay_alu instid0(SALU_CYCLE_1) | instskip(NEXT) | instid1(SALU_CYCLE_1)
	s_xor_b32 s1, s1, s4
	s_sub_i32 s1, s1, s4
	s_delay_alu instid0(SALU_CYCLE_1) | instskip(SKIP_2) | instid1(SALU_CYCLE_1)
	.loc	1 11 29                         ; persistent_matmul.py:11:29 @[ persistent_matmul.py:65:90 ]
	s_lshl_b32 s3, s1, 3
	.loc	1 14 23                         ; persistent_matmul.py:14:23 @[ persistent_matmul.py:65:90 ]
	s_mul_i32 s1, s1, s33
	.loc	1 12 35                         ; persistent_matmul.py:12:35 @[ persistent_matmul.py:65:90 ]
	s_sub_i32 s4, s30, s3
	.loc	1 12 48 is_stmt 0               ; persistent_matmul.py:12:48 @[ persistent_matmul.py:65:90 ]
	s_min_i32 s4, s4, 8
	s_delay_alu instid0(SALU_CYCLE_1) | instskip(NEXT) | instid1(SALU_CYCLE_1)
	.loc	1 13 37 is_stmt 1               ; persistent_matmul.py:13:37 @[ persistent_matmul.py:65:90 ]
	s_abs_i32 s5, s4
	v_cvt_f32_u32_e32 v64, s5
	s_sub_i32 s7, 0, s5
	s_delay_alu instid0(VALU_DEP_1) | instskip(SKIP_2) | instid1(VALU_DEP_1)
	v_rcp_iflag_f32_e32 v64, v64
	s_waitcnt_depctr depctr_va_vdst(0)
	v_mul_f32_e32 v64, 0x4f7ffffe, v64
	v_cvt_u32_f32_e32 v64, v64
	s_delay_alu instid0(VALU_DEP_1) | instskip(SKIP_2) | instid1(SALU_CYCLE_1)
	v_readfirstlane_b32 s6, v64
.Ltmp48:
	.loc	1 66 41                         ; persistent_matmul.py:66:41
	scratch_load_b32 v64, off, off offset:492 ; 4-byte Folded Reload
.Ltmp49:
	.loc	1 13 37                         ; persistent_matmul.py:13:37 @[ persistent_matmul.py:65:90 ]
	s_mul_i32 s7, s7, s6
	s_mul_hi_u32 s7, s6, s7
	s_delay_alu instid0(SALU_CYCLE_1) | instskip(NEXT) | instid1(SALU_CYCLE_1)
	s_add_i32 s6, s6, s7
	s_mul_hi_u32 s7, s0, s6
	s_delay_alu instid0(SALU_CYCLE_1) | instskip(NEXT) | instid1(SALU_CYCLE_1)
	s_mul_i32 s7, s7, s5
	s_sub_i32 s0, s0, s7
	s_delay_alu instid0(SALU_CYCLE_1) | instskip(SKIP_2) | instid1(SALU_CYCLE_1)
	s_sub_i32 s7, s0, s5
	s_cmp_ge_u32 s0, s5
	s_cselect_b32 s0, s7, s0
	s_sub_i32 s7, s0, s5
	s_cmp_ge_u32 s0, s5
	s_cselect_b32 s0, s7, s0
	.loc	1 14 23                         ; persistent_matmul.py:14:23 @[ persistent_matmul.py:65:90 ]
	s_sub_i32 s1, s44, s1
	.loc	1 13 37                         ; persistent_matmul.py:13:37 @[ persistent_matmul.py:65:90 ]
	s_xor_b32 s0, s0, s2
	.loc	1 14 44                         ; persistent_matmul.py:14:44 @[ persistent_matmul.py:65:90 ]
	s_xor_b32 s4, s1, s4
	s_abs_i32 s1, s1
	.loc	1 13 37                         ; persistent_matmul.py:13:37 @[ persistent_matmul.py:65:90 ]
	s_sub_i32 s0, s0, s2
	.loc	1 14 44                         ; persistent_matmul.py:14:44 @[ persistent_matmul.py:65:90 ]
	s_mul_hi_u32 s2, s1, s6
	.loc	1 13 27                         ; persistent_matmul.py:13:27 @[ persistent_matmul.py:65:90 ]
	s_add_i32 s3, s3, s0
	.loc	1 14 44                         ; persistent_matmul.py:14:44 @[ persistent_matmul.py:65:90 ]
	s_mul_i32 s6, s2, s5
	s_ashr_i32 s4, s4, 31
	s_sub_i32 s0, s1, s6
	s_add_i32 s1, s2, 1
	s_sub_i32 s6, s0, s5
	s_cmp_ge_u32 s0, s5
	s_cselect_b32 s1, s1, s2
	s_cselect_b32 s0, s6, s0
	s_add_i32 s2, s1, 1
	s_cmp_ge_u32 s0, s5
	s_cselect_b32 s0, s2, s1
.Ltmp50:
	.loc	1 66 26                         ; persistent_matmul.py:66:26
	s_lshl_b32 s48, s3, 7
.Ltmp51:
	.loc	1 14 44                         ; persistent_matmul.py:14:44 @[ persistent_matmul.py:65:90 ]
	s_xor_b32 s0, s0, s4
	s_delay_alu instid0(SALU_CYCLE_1) | instskip(NEXT) | instid1(SALU_CYCLE_1)
	s_sub_i32 s0, s0, s4
.Ltmp52:
	.loc	1 67 26                         ; persistent_matmul.py:67:26
	s_lshl_b32 s17, s0, 7
	.loc	1 66 41                         ; persistent_matmul.py:66:41
	s_waitcnt vmcnt(0)
	v_or_b32_e32 v70, s48, v64
	.loc	1 67 41                         ; persistent_matmul.py:67:41
	scratch_load_b32 v64, off, off offset:496 ; 4-byte Folded Reload
	.loc	1 69 37                         ; persistent_matmul.py:69:37
	v_cmp_gt_i32_e64 s16, s22, v70
	.loc	1 67 41                         ; persistent_matmul.py:67:41
	s_waitcnt vmcnt(0)
	v_or_b32_e32 v71, s17, v64
	.loc	1 68 37                         ; persistent_matmul.py:68:37
	v_mul_lo_u32 v64, v70, s18
	s_delay_alu instid0(VALU_DEP_2) | instskip(SKIP_1) | instid1(VALU_DEP_3)
	.loc	1 68 68 is_stmt 0               ; persistent_matmul.py:68:68
	v_mul_lo_u32 v66, v71, s19
	.loc	1 69 62 is_stmt 1               ; persistent_matmul.py:69:62
	v_cmp_gt_i32_e32 vcc_lo, s23, v71
	.loc	1 68 25                         ; persistent_matmul.py:68:25
	v_ashrrev_i32_e32 v65, 31, v64
	s_delay_alu instid0(VALU_DEP_3) | instskip(NEXT) | instid1(VALU_DEP_2)
	.loc	1 68 56 is_stmt 0               ; persistent_matmul.py:68:56
	v_ashrrev_i32_e32 v67, 31, v66
	.loc	1 68 25                         ; persistent_matmul.py:68:25
	v_lshlrev_b64 v[68:69], 1, v[64:65]
	s_delay_alu instid0(VALU_DEP_2) | instskip(NEXT) | instid1(VALU_DEP_2)
	v_lshlrev_b64 v[64:65], 1, v[66:67]
	v_add_co_u32 v96, s0, s20, v68
	s_delay_alu instid0(VALU_DEP_1) | instskip(SKIP_1) | instid1(SALU_CYCLE_1)
	v_add_co_ci_u32_e64 v97, null, s21, v69, s0
	.loc	1 69 43 is_stmt 1               ; persistent_matmul.py:69:43
	s_and_b32 s0, s16, vcc_lo
	.loc	1 74 25                         ; persistent_matmul.py:74:25
	s_and_saveexec_b32 s1, s0
	s_cbranch_execz .LBB0_266
; %bb.265:                              ;   in Loop: Header=BB0_133 Depth=1
	.loc	1 0 25 is_stmt 0                ; persistent_matmul.py:0:25
	v_add_co_u32 v66, s0, v96, v64
	s_delay_alu instid0(VALU_DEP_1)
	v_add_co_ci_u32_e64 v67, null, v97, v65, s0
	v_cvt_f16_f32_e32 v68, v56
	.loc	1 74 25                         ; persistent_matmul.py:74:25
	global_store_b16 v[66:67], v68, off
.LBB0_266:                              ;   in Loop: Header=BB0_133 Depth=1
	.loc	1 0 25                          ; persistent_matmul.py:0:25
	s_or_b32 exec_lo, exec_lo, s1
	.loc	1 67 41 is_stmt 1               ; persistent_matmul.py:67:41
	scratch_load_b32 v66, off, off offset:512 ; 4-byte Folded Reload
	s_waitcnt vmcnt(0)
	v_or_b32_e32 v68, s17, v66
	s_delay_alu instid0(VALU_DEP_1) | instskip(SKIP_3) | instid1(VALU_DEP_1)
	.loc	1 68 68                         ; persistent_matmul.py:68:68
	v_mul_lo_u32 v66, v68, s19
	.loc	1 69 62                         ; persistent_matmul.py:69:62
	v_cmp_gt_i32_e64 s0, s23, v68
	.loc	1 69 43 is_stmt 0               ; persistent_matmul.py:69:43
	s_and_b32 s1, s16, s0
	.loc	1 68 56 is_stmt 1               ; persistent_matmul.py:68:56
	v_ashrrev_i32_e32 v67, 31, v66
	v_lshlrev_b64 v[66:67], 1, v[66:67]
	.loc	1 74 25                         ; persistent_matmul.py:74:25
	s_and_saveexec_b32 s2, s1
	s_cbranch_execz .LBB0_268
; %bb.267:                              ;   in Loop: Header=BB0_133 Depth=1
	.loc	1 0 25 is_stmt 0                ; persistent_matmul.py:0:25
	s_delay_alu instid0(VALU_DEP_1) | instskip(NEXT) | instid1(VALU_DEP_1)
	.loc	1 68 56 is_stmt 1               ; persistent_matmul.py:68:56
	v_add_co_u32 v68, s1, v96, v66
	v_add_co_ci_u32_e64 v69, null, v97, v67, s1
	.loc	1 73 31                         ; persistent_matmul.py:73:31
	v_cvt_f16_f32_e32 v70, v57
	.loc	1 74 25                         ; persistent_matmul.py:74:25
	global_store_b16 v[68:69], v70, off
.LBB0_268:                              ;   in Loop: Header=BB0_133 Depth=1
	.loc	1 0 25 is_stmt 0                ; persistent_matmul.py:0:25
	s_or_b32 exec_lo, exec_lo, s2
	.loc	1 67 41 is_stmt 1               ; persistent_matmul.py:67:41
	scratch_load_b32 v68, off, off offset:516 ; 4-byte Folded Reload
	s_waitcnt vmcnt(0)
	v_or_b32_e32 v70, s17, v68
	s_delay_alu instid0(VALU_DEP_1) | instskip(SKIP_3) | instid1(VALU_DEP_1)
	.loc	1 68 68                         ; persistent_matmul.py:68:68
	v_mul_lo_u32 v68, v70, s19
	.loc	1 69 62                         ; persistent_matmul.py:69:62
	v_cmp_gt_i32_e64 s1, s23, v70
	.loc	1 69 43 is_stmt 0               ; persistent_matmul.py:69:43
	s_and_b32 s2, s16, s1
	.loc	1 68 56 is_stmt 1               ; persistent_matmul.py:68:56
	v_ashrrev_i32_e32 v69, 31, v68
	v_lshlrev_b64 v[68:69], 1, v[68:69]
	.loc	1 74 25                         ; persistent_matmul.py:74:25
	s_and_saveexec_b32 s3, s2
	s_cbranch_execz .LBB0_270
; %bb.269:                              ;   in Loop: Header=BB0_133 Depth=1
	.loc	1 0 25 is_stmt 0                ; persistent_matmul.py:0:25
	s_delay_alu instid0(VALU_DEP_1) | instskip(NEXT) | instid1(VALU_DEP_1)
	.loc	1 68 56 is_stmt 1               ; persistent_matmul.py:68:56
	v_add_co_u32 v70, s2, v96, v68
	v_add_co_ci_u32_e64 v71, null, v97, v69, s2
	.loc	1 73 31                         ; persistent_matmul.py:73:31
	v_cvt_f16_f32_e32 v72, v58
	.loc	1 74 25                         ; persistent_matmul.py:74:25
	global_store_b16 v[70:71], v72, off
.LBB0_270:                              ;   in Loop: Header=BB0_133 Depth=1
	.loc	1 0 25 is_stmt 0                ; persistent_matmul.py:0:25
	;; [unrolled: 30-line block ×15, first 2 shown]
	s_or_b32 exec_lo, exec_lo, s17
	.loc	1 66 41 is_stmt 1               ; persistent_matmul.py:66:41
	scratch_load_b32 v96, off, off offset:500 ; 4-byte Folded Reload
	s_waitcnt vmcnt(0)
	v_or_b32_e32 v98, s48, v96
	s_delay_alu instid0(VALU_DEP_1) | instskip(SKIP_1) | instid1(VALU_DEP_2)
	.loc	1 68 37                         ; persistent_matmul.py:68:37
	v_mul_lo_u32 v96, v98, s18
	.loc	1 69 37                         ; persistent_matmul.py:69:37
	v_cmp_gt_i32_e64 s16, s22, v98
	.loc	1 68 25                         ; persistent_matmul.py:68:25
	v_ashrrev_i32_e32 v97, 31, v96
	s_delay_alu instid0(VALU_DEP_1) | instskip(NEXT) | instid1(VALU_DEP_1)
	v_lshlrev_b64 v[96:97], 1, v[96:97]
	v_add_co_u32 v96, s17, s20, v96
	s_delay_alu instid0(VALU_DEP_1) | instskip(SKIP_1) | instid1(SALU_CYCLE_1)
	v_add_co_ci_u32_e64 v97, null, s21, v97, s17
	.loc	1 69 43                         ; persistent_matmul.py:69:43
	s_and_b32 s17, s16, vcc_lo
	.loc	1 74 25                         ; persistent_matmul.py:74:25
	s_and_saveexec_b32 s49, s17
	s_cbranch_execnz .LBB0_346
; %bb.297:                              ;   in Loop: Header=BB0_133 Depth=1
	.loc	1 0 25 is_stmt 0                ; persistent_matmul.py:0:25
	s_or_b32 exec_lo, exec_lo, s49
	.loc	1 69 43 is_stmt 1               ; persistent_matmul.py:69:43
	s_and_b32 s17, s16, s0
	s_delay_alu instid0(SALU_CYCLE_1)
	.loc	1 74 25                         ; persistent_matmul.py:74:25
	s_and_saveexec_b32 s49, s17
	s_cbranch_execnz .LBB0_347
.LBB0_298:                              ;   in Loop: Header=BB0_133 Depth=1
	.loc	1 0 25 is_stmt 0                ; persistent_matmul.py:0:25
	s_or_b32 exec_lo, exec_lo, s49
	.loc	1 69 43 is_stmt 1               ; persistent_matmul.py:69:43
	s_and_b32 s17, s16, s1
	s_delay_alu instid0(SALU_CYCLE_1)
	.loc	1 74 25                         ; persistent_matmul.py:74:25
	s_and_saveexec_b32 s49, s17
	s_cbranch_execnz .LBB0_348
.LBB0_299:                              ;   in Loop: Header=BB0_133 Depth=1
	.loc	1 0 25 is_stmt 0                ; persistent_matmul.py:0:25
	s_or_b32 exec_lo, exec_lo, s49
	.loc	1 69 43 is_stmt 1               ; persistent_matmul.py:69:43
	s_and_b32 s17, s16, s2
	s_delay_alu instid0(SALU_CYCLE_1)
	.loc	1 74 25                         ; persistent_matmul.py:74:25
	s_and_saveexec_b32 s49, s17
	s_cbranch_execnz .LBB0_349
.LBB0_300:                              ;   in Loop: Header=BB0_133 Depth=1
	.loc	1 0 25 is_stmt 0                ; persistent_matmul.py:0:25
	s_or_b32 exec_lo, exec_lo, s49
	.loc	1 69 43 is_stmt 1               ; persistent_matmul.py:69:43
	s_and_b32 s17, s16, s3
	s_delay_alu instid0(SALU_CYCLE_1)
	.loc	1 74 25                         ; persistent_matmul.py:74:25
	s_and_saveexec_b32 s49, s17
	s_cbranch_execnz .LBB0_350
.LBB0_301:                              ;   in Loop: Header=BB0_133 Depth=1
	.loc	1 0 25 is_stmt 0                ; persistent_matmul.py:0:25
	s_or_b32 exec_lo, exec_lo, s49
	.loc	1 69 43 is_stmt 1               ; persistent_matmul.py:69:43
	s_and_b32 s17, s16, s4
	s_delay_alu instid0(SALU_CYCLE_1)
	.loc	1 74 25                         ; persistent_matmul.py:74:25
	s_and_saveexec_b32 s49, s17
	s_cbranch_execnz .LBB0_351
.LBB0_302:                              ;   in Loop: Header=BB0_133 Depth=1
	.loc	1 0 25 is_stmt 0                ; persistent_matmul.py:0:25
	s_or_b32 exec_lo, exec_lo, s49
	.loc	1 69 43 is_stmt 1               ; persistent_matmul.py:69:43
	s_and_b32 s17, s16, s5
	s_delay_alu instid0(SALU_CYCLE_1)
	.loc	1 74 25                         ; persistent_matmul.py:74:25
	s_and_saveexec_b32 s49, s17
	s_cbranch_execnz .LBB0_352
.LBB0_303:                              ;   in Loop: Header=BB0_133 Depth=1
	.loc	1 0 25 is_stmt 0                ; persistent_matmul.py:0:25
	s_or_b32 exec_lo, exec_lo, s49
	.loc	1 69 43 is_stmt 1               ; persistent_matmul.py:69:43
	s_and_b32 s17, s16, s6
	s_delay_alu instid0(SALU_CYCLE_1)
	.loc	1 74 25                         ; persistent_matmul.py:74:25
	s_and_saveexec_b32 s49, s17
	s_cbranch_execnz .LBB0_353
.LBB0_304:                              ;   in Loop: Header=BB0_133 Depth=1
	.loc	1 0 25 is_stmt 0                ; persistent_matmul.py:0:25
	s_or_b32 exec_lo, exec_lo, s49
	.loc	1 69 43 is_stmt 1               ; persistent_matmul.py:69:43
	s_and_b32 s17, s16, s7
	s_delay_alu instid0(SALU_CYCLE_1)
	.loc	1 74 25                         ; persistent_matmul.py:74:25
	s_and_saveexec_b32 s49, s17
	s_cbranch_execnz .LBB0_354
.LBB0_305:                              ;   in Loop: Header=BB0_133 Depth=1
	.loc	1 0 25 is_stmt 0                ; persistent_matmul.py:0:25
	s_or_b32 exec_lo, exec_lo, s49
	.loc	1 69 43 is_stmt 1               ; persistent_matmul.py:69:43
	s_and_b32 s17, s16, s8
	s_delay_alu instid0(SALU_CYCLE_1)
	.loc	1 74 25                         ; persistent_matmul.py:74:25
	s_and_saveexec_b32 s49, s17
	s_cbranch_execnz .LBB0_355
.LBB0_306:                              ;   in Loop: Header=BB0_133 Depth=1
	.loc	1 0 25 is_stmt 0                ; persistent_matmul.py:0:25
	s_or_b32 exec_lo, exec_lo, s49
	.loc	1 69 43 is_stmt 1               ; persistent_matmul.py:69:43
	s_and_b32 s17, s16, s9
	s_delay_alu instid0(SALU_CYCLE_1)
	.loc	1 74 25                         ; persistent_matmul.py:74:25
	s_and_saveexec_b32 s49, s17
	s_cbranch_execnz .LBB0_356
.LBB0_307:                              ;   in Loop: Header=BB0_133 Depth=1
	.loc	1 0 25 is_stmt 0                ; persistent_matmul.py:0:25
	s_or_b32 exec_lo, exec_lo, s49
	.loc	1 69 43 is_stmt 1               ; persistent_matmul.py:69:43
	s_and_b32 s17, s16, s10
	s_delay_alu instid0(SALU_CYCLE_1)
	.loc	1 74 25                         ; persistent_matmul.py:74:25
	s_and_saveexec_b32 s49, s17
	s_cbranch_execnz .LBB0_357
.LBB0_308:                              ;   in Loop: Header=BB0_133 Depth=1
	.loc	1 0 25 is_stmt 0                ; persistent_matmul.py:0:25
	s_or_b32 exec_lo, exec_lo, s49
	.loc	1 69 43 is_stmt 1               ; persistent_matmul.py:69:43
	s_and_b32 s17, s16, s11
	s_delay_alu instid0(SALU_CYCLE_1)
	.loc	1 74 25                         ; persistent_matmul.py:74:25
	s_and_saveexec_b32 s49, s17
	s_cbranch_execnz .LBB0_358
.LBB0_309:                              ;   in Loop: Header=BB0_133 Depth=1
	.loc	1 0 25 is_stmt 0                ; persistent_matmul.py:0:25
	s_or_b32 exec_lo, exec_lo, s49
	.loc	1 69 43 is_stmt 1               ; persistent_matmul.py:69:43
	s_and_b32 s17, s16, s12
	s_delay_alu instid0(SALU_CYCLE_1)
	.loc	1 74 25                         ; persistent_matmul.py:74:25
	s_and_saveexec_b32 s49, s17
	s_cbranch_execnz .LBB0_359
.LBB0_310:                              ;   in Loop: Header=BB0_133 Depth=1
	.loc	1 0 25 is_stmt 0                ; persistent_matmul.py:0:25
	s_or_b32 exec_lo, exec_lo, s49
	.loc	1 69 43 is_stmt 1               ; persistent_matmul.py:69:43
	s_and_b32 s17, s16, s13
	s_delay_alu instid0(SALU_CYCLE_1)
	.loc	1 74 25                         ; persistent_matmul.py:74:25
	s_and_saveexec_b32 s49, s17
	s_cbranch_execnz .LBB0_360
.LBB0_311:                              ;   in Loop: Header=BB0_133 Depth=1
	.loc	1 0 25 is_stmt 0                ; persistent_matmul.py:0:25
	s_or_b32 exec_lo, exec_lo, s49
	.loc	1 69 43 is_stmt 1               ; persistent_matmul.py:69:43
	s_and_b32 s16, s16, s14
	s_delay_alu instid0(SALU_CYCLE_1)
	.loc	1 74 25                         ; persistent_matmul.py:74:25
	s_and_saveexec_b32 s17, s16
	s_cbranch_execz .LBB0_313
.LBB0_312:                              ;   in Loop: Header=BB0_133 Depth=1
	.loc	1 68 56                         ; persistent_matmul.py:68:56
	v_add_co_u32 v96, s16, v96, v94
	s_delay_alu instid0(VALU_DEP_1)
	v_add_co_ci_u32_e64 v97, null, v97, v95, s16
	.loc	1 73 31                         ; persistent_matmul.py:73:31
	v_cvt_f16_f32_e32 v98, v39
	.loc	1 74 25                         ; persistent_matmul.py:74:25
	global_store_b16 v[96:97], v98, off
.LBB0_313:                              ;   in Loop: Header=BB0_133 Depth=1
	.loc	1 0 25 is_stmt 0                ; persistent_matmul.py:0:25
	s_or_b32 exec_lo, exec_lo, s17
	.loc	1 66 41 is_stmt 1               ; persistent_matmul.py:66:41
	scratch_load_b32 v96, off, off offset:504 ; 4-byte Folded Reload
	s_waitcnt vmcnt(0)
	v_or_b32_e32 v98, s48, v96
	s_delay_alu instid0(VALU_DEP_1) | instskip(SKIP_1) | instid1(VALU_DEP_2)
	.loc	1 68 37                         ; persistent_matmul.py:68:37
	v_mul_lo_u32 v96, v98, s18
	.loc	1 69 37                         ; persistent_matmul.py:69:37
	v_cmp_gt_i32_e64 s16, s22, v98
	.loc	1 68 25                         ; persistent_matmul.py:68:25
	v_ashrrev_i32_e32 v97, 31, v96
	s_delay_alu instid0(VALU_DEP_1) | instskip(NEXT) | instid1(VALU_DEP_1)
	v_lshlrev_b64 v[96:97], 1, v[96:97]
	v_add_co_u32 v96, s17, s20, v96
	s_delay_alu instid0(VALU_DEP_1) | instskip(SKIP_1) | instid1(SALU_CYCLE_1)
	v_add_co_ci_u32_e64 v97, null, s21, v97, s17
	.loc	1 69 43                         ; persistent_matmul.py:69:43
	s_and_b32 s17, s16, vcc_lo
	.loc	1 74 25                         ; persistent_matmul.py:74:25
	s_and_saveexec_b32 s49, s17
	s_cbranch_execnz .LBB0_361
; %bb.314:                              ;   in Loop: Header=BB0_133 Depth=1
	.loc	1 0 25 is_stmt 0                ; persistent_matmul.py:0:25
	s_or_b32 exec_lo, exec_lo, s49
	.loc	1 69 43 is_stmt 1               ; persistent_matmul.py:69:43
	s_and_b32 s17, s16, s0
	s_delay_alu instid0(SALU_CYCLE_1)
	.loc	1 74 25                         ; persistent_matmul.py:74:25
	s_and_saveexec_b32 s49, s17
	s_cbranch_execnz .LBB0_362
.LBB0_315:                              ;   in Loop: Header=BB0_133 Depth=1
	.loc	1 0 25 is_stmt 0                ; persistent_matmul.py:0:25
	s_or_b32 exec_lo, exec_lo, s49
	.loc	1 69 43 is_stmt 1               ; persistent_matmul.py:69:43
	s_and_b32 s17, s16, s1
	s_delay_alu instid0(SALU_CYCLE_1)
	.loc	1 74 25                         ; persistent_matmul.py:74:25
	s_and_saveexec_b32 s49, s17
	s_cbranch_execnz .LBB0_363
.LBB0_316:                              ;   in Loop: Header=BB0_133 Depth=1
	.loc	1 0 25 is_stmt 0                ; persistent_matmul.py:0:25
	s_or_b32 exec_lo, exec_lo, s49
	.loc	1 69 43 is_stmt 1               ; persistent_matmul.py:69:43
	s_and_b32 s17, s16, s2
	s_delay_alu instid0(SALU_CYCLE_1)
	.loc	1 74 25                         ; persistent_matmul.py:74:25
	s_and_saveexec_b32 s49, s17
	s_cbranch_execnz .LBB0_364
.LBB0_317:                              ;   in Loop: Header=BB0_133 Depth=1
	.loc	1 0 25 is_stmt 0                ; persistent_matmul.py:0:25
	s_or_b32 exec_lo, exec_lo, s49
	.loc	1 69 43 is_stmt 1               ; persistent_matmul.py:69:43
	s_and_b32 s17, s16, s3
	s_delay_alu instid0(SALU_CYCLE_1)
	.loc	1 74 25                         ; persistent_matmul.py:74:25
	s_and_saveexec_b32 s49, s17
	s_cbranch_execnz .LBB0_365
.LBB0_318:                              ;   in Loop: Header=BB0_133 Depth=1
	.loc	1 0 25 is_stmt 0                ; persistent_matmul.py:0:25
	s_or_b32 exec_lo, exec_lo, s49
	.loc	1 69 43 is_stmt 1               ; persistent_matmul.py:69:43
	s_and_b32 s17, s16, s4
	s_delay_alu instid0(SALU_CYCLE_1)
	.loc	1 74 25                         ; persistent_matmul.py:74:25
	s_and_saveexec_b32 s49, s17
	s_cbranch_execnz .LBB0_366
.LBB0_319:                              ;   in Loop: Header=BB0_133 Depth=1
	.loc	1 0 25 is_stmt 0                ; persistent_matmul.py:0:25
	s_or_b32 exec_lo, exec_lo, s49
	.loc	1 69 43 is_stmt 1               ; persistent_matmul.py:69:43
	s_and_b32 s17, s16, s5
	s_delay_alu instid0(SALU_CYCLE_1)
	.loc	1 74 25                         ; persistent_matmul.py:74:25
	s_and_saveexec_b32 s49, s17
	s_cbranch_execnz .LBB0_367
.LBB0_320:                              ;   in Loop: Header=BB0_133 Depth=1
	.loc	1 0 25 is_stmt 0                ; persistent_matmul.py:0:25
	s_or_b32 exec_lo, exec_lo, s49
	.loc	1 69 43 is_stmt 1               ; persistent_matmul.py:69:43
	s_and_b32 s17, s16, s6
	s_delay_alu instid0(SALU_CYCLE_1)
	.loc	1 74 25                         ; persistent_matmul.py:74:25
	s_and_saveexec_b32 s49, s17
	s_cbranch_execnz .LBB0_368
.LBB0_321:                              ;   in Loop: Header=BB0_133 Depth=1
	.loc	1 0 25 is_stmt 0                ; persistent_matmul.py:0:25
	s_or_b32 exec_lo, exec_lo, s49
	.loc	1 69 43 is_stmt 1               ; persistent_matmul.py:69:43
	s_and_b32 s17, s16, s7
	s_delay_alu instid0(SALU_CYCLE_1)
	.loc	1 74 25                         ; persistent_matmul.py:74:25
	s_and_saveexec_b32 s49, s17
	s_cbranch_execnz .LBB0_369
.LBB0_322:                              ;   in Loop: Header=BB0_133 Depth=1
	.loc	1 0 25 is_stmt 0                ; persistent_matmul.py:0:25
	s_or_b32 exec_lo, exec_lo, s49
	.loc	1 69 43 is_stmt 1               ; persistent_matmul.py:69:43
	s_and_b32 s17, s16, s8
	s_delay_alu instid0(SALU_CYCLE_1)
	.loc	1 74 25                         ; persistent_matmul.py:74:25
	s_and_saveexec_b32 s49, s17
	s_cbranch_execnz .LBB0_370
.LBB0_323:                              ;   in Loop: Header=BB0_133 Depth=1
	.loc	1 0 25 is_stmt 0                ; persistent_matmul.py:0:25
	s_or_b32 exec_lo, exec_lo, s49
	.loc	1 69 43 is_stmt 1               ; persistent_matmul.py:69:43
	s_and_b32 s17, s16, s9
	s_delay_alu instid0(SALU_CYCLE_1)
	.loc	1 74 25                         ; persistent_matmul.py:74:25
	s_and_saveexec_b32 s49, s17
	s_cbranch_execnz .LBB0_371
.LBB0_324:                              ;   in Loop: Header=BB0_133 Depth=1
	.loc	1 0 25 is_stmt 0                ; persistent_matmul.py:0:25
	s_or_b32 exec_lo, exec_lo, s49
	.loc	1 69 43 is_stmt 1               ; persistent_matmul.py:69:43
	s_and_b32 s17, s16, s10
	s_delay_alu instid0(SALU_CYCLE_1)
	.loc	1 74 25                         ; persistent_matmul.py:74:25
	s_and_saveexec_b32 s49, s17
	s_cbranch_execnz .LBB0_372
.LBB0_325:                              ;   in Loop: Header=BB0_133 Depth=1
	.loc	1 0 25 is_stmt 0                ; persistent_matmul.py:0:25
	s_or_b32 exec_lo, exec_lo, s49
	.loc	1 69 43 is_stmt 1               ; persistent_matmul.py:69:43
	s_and_b32 s17, s16, s11
	s_delay_alu instid0(SALU_CYCLE_1)
	.loc	1 74 25                         ; persistent_matmul.py:74:25
	s_and_saveexec_b32 s49, s17
	s_cbranch_execnz .LBB0_373
.LBB0_326:                              ;   in Loop: Header=BB0_133 Depth=1
	.loc	1 0 25 is_stmt 0                ; persistent_matmul.py:0:25
	s_or_b32 exec_lo, exec_lo, s49
	.loc	1 69 43 is_stmt 1               ; persistent_matmul.py:69:43
	s_and_b32 s17, s16, s12
	s_delay_alu instid0(SALU_CYCLE_1)
	.loc	1 74 25                         ; persistent_matmul.py:74:25
	s_and_saveexec_b32 s49, s17
	s_cbranch_execnz .LBB0_374
.LBB0_327:                              ;   in Loop: Header=BB0_133 Depth=1
	.loc	1 0 25 is_stmt 0                ; persistent_matmul.py:0:25
	s_or_b32 exec_lo, exec_lo, s49
	.loc	1 69 43 is_stmt 1               ; persistent_matmul.py:69:43
	s_and_b32 s17, s16, s13
	s_delay_alu instid0(SALU_CYCLE_1)
	.loc	1 74 25                         ; persistent_matmul.py:74:25
	s_and_saveexec_b32 s49, s17
	s_cbranch_execnz .LBB0_375
.LBB0_328:                              ;   in Loop: Header=BB0_133 Depth=1
	.loc	1 0 25 is_stmt 0                ; persistent_matmul.py:0:25
	s_or_b32 exec_lo, exec_lo, s49
	.loc	1 69 43 is_stmt 1               ; persistent_matmul.py:69:43
	s_and_b32 s16, s16, s14
	s_delay_alu instid0(SALU_CYCLE_1)
	.loc	1 74 25                         ; persistent_matmul.py:74:25
	s_and_saveexec_b32 s17, s16
	s_cbranch_execz .LBB0_330
.LBB0_329:                              ;   in Loop: Header=BB0_133 Depth=1
	.loc	1 68 56                         ; persistent_matmul.py:68:56
	v_add_co_u32 v96, s16, v96, v94
	s_delay_alu instid0(VALU_DEP_1)
	v_add_co_ci_u32_e64 v97, null, v97, v95, s16
	.loc	1 73 31                         ; persistent_matmul.py:73:31
	v_cvt_f16_f32_e32 v98, v23
	.loc	1 74 25                         ; persistent_matmul.py:74:25
	global_store_b16 v[96:97], v98, off
.LBB0_330:                              ;   in Loop: Header=BB0_133 Depth=1
	.loc	1 0 25 is_stmt 0                ; persistent_matmul.py:0:25
	s_or_b32 exec_lo, exec_lo, s17
	.loc	1 66 41 is_stmt 1               ; persistent_matmul.py:66:41
	scratch_load_b32 v96, off, off offset:508 ; 4-byte Folded Reload
	s_waitcnt vmcnt(0)
	v_or_b32_e32 v98, s48, v96
	s_delay_alu instid0(VALU_DEP_1) | instskip(SKIP_3) | instid1(VALU_DEP_1)
	.loc	1 68 37                         ; persistent_matmul.py:68:37
	v_mul_lo_u32 v96, v98, s18
	.loc	1 69 37                         ; persistent_matmul.py:69:37
	v_cmp_gt_i32_e64 s16, s22, v98
	.loc	1 69 43 is_stmt 0               ; persistent_matmul.py:69:43
	s_and_b32 s48, s16, vcc_lo
	.loc	1 68 25 is_stmt 1               ; persistent_matmul.py:68:25
	v_ashrrev_i32_e32 v97, 31, v96
	v_lshlrev_b64 v[96:97], 1, v[96:97]
	s_delay_alu instid0(VALU_DEP_1) | instskip(NEXT) | instid1(VALU_DEP_1)
	v_add_co_u32 v96, s17, s20, v96
	v_add_co_ci_u32_e64 v97, null, s21, v97, s17
	.loc	1 74 25                         ; persistent_matmul.py:74:25
	s_and_saveexec_b32 s17, s48
	s_cbranch_execnz .LBB0_376
; %bb.331:                              ;   in Loop: Header=BB0_133 Depth=1
	.loc	1 0 25 is_stmt 0                ; persistent_matmul.py:0:25
	s_or_b32 exec_lo, exec_lo, s17
	.loc	1 69 43 is_stmt 1               ; persistent_matmul.py:69:43
	s_and_b32 s17, s16, s0
	s_delay_alu instid0(SALU_CYCLE_1)
	.loc	1 74 25                         ; persistent_matmul.py:74:25
	s_and_saveexec_b32 s0, s17
	s_cbranch_execnz .LBB0_377
.LBB0_332:                              ;   in Loop: Header=BB0_133 Depth=1
	.loc	1 0 25 is_stmt 0                ; persistent_matmul.py:0:25
	s_or_b32 exec_lo, exec_lo, s0
	.loc	1 69 43 is_stmt 1               ; persistent_matmul.py:69:43
	s_and_b32 s1, s16, s1
	s_delay_alu instid0(SALU_CYCLE_1)
	.loc	1 74 25                         ; persistent_matmul.py:74:25
	s_and_saveexec_b32 s0, s1
	s_cbranch_execnz .LBB0_378
.LBB0_333:                              ;   in Loop: Header=BB0_133 Depth=1
	.loc	1 0 25 is_stmt 0                ; persistent_matmul.py:0:25
	s_or_b32 exec_lo, exec_lo, s0
	.loc	1 69 43 is_stmt 1               ; persistent_matmul.py:69:43
	s_and_b32 s1, s16, s2
	s_delay_alu instid0(SALU_CYCLE_1)
	.loc	1 74 25                         ; persistent_matmul.py:74:25
	s_and_saveexec_b32 s0, s1
	s_cbranch_execnz .LBB0_379
.LBB0_334:                              ;   in Loop: Header=BB0_133 Depth=1
	.loc	1 0 25 is_stmt 0                ; persistent_matmul.py:0:25
	s_or_b32 exec_lo, exec_lo, s0
	.loc	1 69 43 is_stmt 1               ; persistent_matmul.py:69:43
	s_and_b32 s1, s16, s3
	s_delay_alu instid0(SALU_CYCLE_1)
	.loc	1 74 25                         ; persistent_matmul.py:74:25
	s_and_saveexec_b32 s0, s1
	s_cbranch_execnz .LBB0_380
.LBB0_335:                              ;   in Loop: Header=BB0_133 Depth=1
	.loc	1 0 25 is_stmt 0                ; persistent_matmul.py:0:25
	s_or_b32 exec_lo, exec_lo, s0
	.loc	1 69 43 is_stmt 1               ; persistent_matmul.py:69:43
	s_and_b32 s1, s16, s4
	s_delay_alu instid0(SALU_CYCLE_1)
	.loc	1 74 25                         ; persistent_matmul.py:74:25
	s_and_saveexec_b32 s0, s1
	s_cbranch_execnz .LBB0_381
.LBB0_336:                              ;   in Loop: Header=BB0_133 Depth=1
	.loc	1 0 25 is_stmt 0                ; persistent_matmul.py:0:25
	s_or_b32 exec_lo, exec_lo, s0
	.loc	1 69 43 is_stmt 1               ; persistent_matmul.py:69:43
	s_and_b32 s1, s16, s5
	s_delay_alu instid0(SALU_CYCLE_1)
	.loc	1 74 25                         ; persistent_matmul.py:74:25
	s_and_saveexec_b32 s0, s1
	s_cbranch_execnz .LBB0_382
.LBB0_337:                              ;   in Loop: Header=BB0_133 Depth=1
	.loc	1 0 25 is_stmt 0                ; persistent_matmul.py:0:25
	s_or_b32 exec_lo, exec_lo, s0
	.loc	1 69 43 is_stmt 1               ; persistent_matmul.py:69:43
	s_and_b32 s1, s16, s6
	s_delay_alu instid0(SALU_CYCLE_1)
	.loc	1 74 25                         ; persistent_matmul.py:74:25
	s_and_saveexec_b32 s0, s1
	s_cbranch_execnz .LBB0_383
.LBB0_338:                              ;   in Loop: Header=BB0_133 Depth=1
	.loc	1 0 25 is_stmt 0                ; persistent_matmul.py:0:25
	s_or_b32 exec_lo, exec_lo, s0
	.loc	1 69 43 is_stmt 1               ; persistent_matmul.py:69:43
	s_and_b32 s1, s16, s7
	s_delay_alu instid0(SALU_CYCLE_1)
	.loc	1 74 25                         ; persistent_matmul.py:74:25
	s_and_saveexec_b32 s0, s1
	s_cbranch_execnz .LBB0_384
.LBB0_339:                              ;   in Loop: Header=BB0_133 Depth=1
	.loc	1 0 25 is_stmt 0                ; persistent_matmul.py:0:25
	s_or_b32 exec_lo, exec_lo, s0
	.loc	1 69 43 is_stmt 1               ; persistent_matmul.py:69:43
	s_and_b32 s1, s16, s8
	s_delay_alu instid0(SALU_CYCLE_1)
	.loc	1 74 25                         ; persistent_matmul.py:74:25
	s_and_saveexec_b32 s0, s1
	s_cbranch_execnz .LBB0_385
.LBB0_340:                              ;   in Loop: Header=BB0_133 Depth=1
	.loc	1 0 25 is_stmt 0                ; persistent_matmul.py:0:25
	s_or_b32 exec_lo, exec_lo, s0
	.loc	1 69 43 is_stmt 1               ; persistent_matmul.py:69:43
	s_and_b32 s1, s16, s9
	s_delay_alu instid0(SALU_CYCLE_1)
	.loc	1 74 25                         ; persistent_matmul.py:74:25
	s_and_saveexec_b32 s0, s1
	s_cbranch_execnz .LBB0_386
.LBB0_341:                              ;   in Loop: Header=BB0_133 Depth=1
	.loc	1 0 25 is_stmt 0                ; persistent_matmul.py:0:25
	s_or_b32 exec_lo, exec_lo, s0
	.loc	1 69 43 is_stmt 1               ; persistent_matmul.py:69:43
	s_and_b32 s1, s16, s10
	s_delay_alu instid0(SALU_CYCLE_1)
	.loc	1 74 25                         ; persistent_matmul.py:74:25
	s_and_saveexec_b32 s0, s1
	s_cbranch_execnz .LBB0_387
.LBB0_342:                              ;   in Loop: Header=BB0_133 Depth=1
	.loc	1 0 25 is_stmt 0                ; persistent_matmul.py:0:25
	s_or_b32 exec_lo, exec_lo, s0
	.loc	1 69 43 is_stmt 1               ; persistent_matmul.py:69:43
	s_and_b32 s1, s16, s11
	s_delay_alu instid0(SALU_CYCLE_1)
	.loc	1 74 25                         ; persistent_matmul.py:74:25
	s_and_saveexec_b32 s0, s1
	s_cbranch_execnz .LBB0_388
.LBB0_343:                              ;   in Loop: Header=BB0_133 Depth=1
	.loc	1 0 25 is_stmt 0                ; persistent_matmul.py:0:25
	s_or_b32 exec_lo, exec_lo, s0
	.loc	1 69 43 is_stmt 1               ; persistent_matmul.py:69:43
	s_and_b32 s1, s16, s12
	s_delay_alu instid0(SALU_CYCLE_1)
	.loc	1 74 25                         ; persistent_matmul.py:74:25
	s_and_saveexec_b32 s0, s1
	s_cbranch_execnz .LBB0_389
.LBB0_344:                              ;   in Loop: Header=BB0_133 Depth=1
	.loc	1 0 25 is_stmt 0                ; persistent_matmul.py:0:25
	s_or_b32 exec_lo, exec_lo, s0
	.loc	1 69 43 is_stmt 1               ; persistent_matmul.py:69:43
	s_and_b32 s1, s16, s13
	s_delay_alu instid0(SALU_CYCLE_1)
	.loc	1 74 25                         ; persistent_matmul.py:74:25
	s_and_saveexec_b32 s0, s1
	s_cbranch_execnz .LBB0_390
.LBB0_345:                              ;   in Loop: Header=BB0_133 Depth=1
	.loc	1 0 25 is_stmt 0                ; persistent_matmul.py:0:25
	s_or_b32 exec_lo, exec_lo, s0
	.loc	1 69 43 is_stmt 1               ; persistent_matmul.py:69:43
	s_and_b32 s1, s16, s14
	s_delay_alu instid0(SALU_CYCLE_1)
	.loc	1 74 25                         ; persistent_matmul.py:74:25
	s_and_saveexec_b32 s0, s1
	s_cbranch_execz .LBB0_131
	s_branch .LBB0_391
.LBB0_346:                              ;   in Loop: Header=BB0_133 Depth=1
	.loc	1 68 56                         ; persistent_matmul.py:68:56
	v_add_co_u32 v98, s17, v96, v64
	s_delay_alu instid0(VALU_DEP_1) | instskip(SKIP_4) | instid1(SALU_CYCLE_1)
	v_add_co_ci_u32_e64 v99, null, v97, v65, s17
	.loc	1 73 31                         ; persistent_matmul.py:73:31
	v_cvt_f16_f32_e32 v100, v40
	.loc	1 74 25                         ; persistent_matmul.py:74:25
	global_store_b16 v[98:99], v100, off
	s_or_b32 exec_lo, exec_lo, s49
	.loc	1 69 43                         ; persistent_matmul.py:69:43
	s_and_b32 s17, s16, s0
	.loc	1 74 25                         ; persistent_matmul.py:74:25
	s_and_saveexec_b32 s49, s17
	s_cbranch_execz .LBB0_298
.LBB0_347:                              ;   in Loop: Header=BB0_133 Depth=1
	.loc	1 68 56                         ; persistent_matmul.py:68:56
	v_add_co_u32 v98, s17, v96, v66
	s_delay_alu instid0(VALU_DEP_1) | instskip(SKIP_4) | instid1(SALU_CYCLE_1)
	v_add_co_ci_u32_e64 v99, null, v97, v67, s17
	.loc	1 73 31                         ; persistent_matmul.py:73:31
	v_cvt_f16_f32_e32 v100, v41
	.loc	1 74 25                         ; persistent_matmul.py:74:25
	global_store_b16 v[98:99], v100, off
	s_or_b32 exec_lo, exec_lo, s49
	.loc	1 69 43                         ; persistent_matmul.py:69:43
	s_and_b32 s17, s16, s1
	.loc	1 74 25                         ; persistent_matmul.py:74:25
	s_and_saveexec_b32 s49, s17
	s_cbranch_execz .LBB0_299
.LBB0_348:                              ;   in Loop: Header=BB0_133 Depth=1
	.loc	1 68 56                         ; persistent_matmul.py:68:56
	v_add_co_u32 v98, s17, v96, v68
	s_delay_alu instid0(VALU_DEP_1) | instskip(SKIP_4) | instid1(SALU_CYCLE_1)
	v_add_co_ci_u32_e64 v99, null, v97, v69, s17
	.loc	1 73 31                         ; persistent_matmul.py:73:31
	v_cvt_f16_f32_e32 v100, v42
	.loc	1 74 25                         ; persistent_matmul.py:74:25
	global_store_b16 v[98:99], v100, off
	s_or_b32 exec_lo, exec_lo, s49
	.loc	1 69 43                         ; persistent_matmul.py:69:43
	s_and_b32 s17, s16, s2
	.loc	1 74 25                         ; persistent_matmul.py:74:25
	s_and_saveexec_b32 s49, s17
	s_cbranch_execz .LBB0_300
.LBB0_349:                              ;   in Loop: Header=BB0_133 Depth=1
	.loc	1 68 56                         ; persistent_matmul.py:68:56
	v_add_co_u32 v98, s17, v96, v70
	s_delay_alu instid0(VALU_DEP_1) | instskip(SKIP_4) | instid1(SALU_CYCLE_1)
	v_add_co_ci_u32_e64 v99, null, v97, v71, s17
	.loc	1 73 31                         ; persistent_matmul.py:73:31
	v_cvt_f16_f32_e32 v100, v43
	.loc	1 74 25                         ; persistent_matmul.py:74:25
	global_store_b16 v[98:99], v100, off
	s_or_b32 exec_lo, exec_lo, s49
	.loc	1 69 43                         ; persistent_matmul.py:69:43
	s_and_b32 s17, s16, s3
	.loc	1 74 25                         ; persistent_matmul.py:74:25
	s_and_saveexec_b32 s49, s17
	s_cbranch_execz .LBB0_301
.LBB0_350:                              ;   in Loop: Header=BB0_133 Depth=1
	.loc	1 68 56                         ; persistent_matmul.py:68:56
	v_add_co_u32 v98, s17, v96, v72
	s_delay_alu instid0(VALU_DEP_1) | instskip(SKIP_4) | instid1(SALU_CYCLE_1)
	v_add_co_ci_u32_e64 v99, null, v97, v73, s17
	.loc	1 73 31                         ; persistent_matmul.py:73:31
	v_cvt_f16_f32_e32 v100, v44
	.loc	1 74 25                         ; persistent_matmul.py:74:25
	global_store_b16 v[98:99], v100, off
	s_or_b32 exec_lo, exec_lo, s49
	.loc	1 69 43                         ; persistent_matmul.py:69:43
	s_and_b32 s17, s16, s4
	.loc	1 74 25                         ; persistent_matmul.py:74:25
	s_and_saveexec_b32 s49, s17
	s_cbranch_execz .LBB0_302
.LBB0_351:                              ;   in Loop: Header=BB0_133 Depth=1
	.loc	1 68 56                         ; persistent_matmul.py:68:56
	v_add_co_u32 v98, s17, v96, v74
	s_delay_alu instid0(VALU_DEP_1) | instskip(SKIP_4) | instid1(SALU_CYCLE_1)
	v_add_co_ci_u32_e64 v99, null, v97, v75, s17
	.loc	1 73 31                         ; persistent_matmul.py:73:31
	v_cvt_f16_f32_e32 v100, v45
	.loc	1 74 25                         ; persistent_matmul.py:74:25
	global_store_b16 v[98:99], v100, off
	s_or_b32 exec_lo, exec_lo, s49
	.loc	1 69 43                         ; persistent_matmul.py:69:43
	s_and_b32 s17, s16, s5
	.loc	1 74 25                         ; persistent_matmul.py:74:25
	s_and_saveexec_b32 s49, s17
	s_cbranch_execz .LBB0_303
.LBB0_352:                              ;   in Loop: Header=BB0_133 Depth=1
	.loc	1 68 56                         ; persistent_matmul.py:68:56
	v_add_co_u32 v98, s17, v96, v76
	s_delay_alu instid0(VALU_DEP_1) | instskip(SKIP_4) | instid1(SALU_CYCLE_1)
	v_add_co_ci_u32_e64 v99, null, v97, v77, s17
	.loc	1 73 31                         ; persistent_matmul.py:73:31
	v_cvt_f16_f32_e32 v100, v46
	.loc	1 74 25                         ; persistent_matmul.py:74:25
	global_store_b16 v[98:99], v100, off
	s_or_b32 exec_lo, exec_lo, s49
	.loc	1 69 43                         ; persistent_matmul.py:69:43
	s_and_b32 s17, s16, s6
	.loc	1 74 25                         ; persistent_matmul.py:74:25
	s_and_saveexec_b32 s49, s17
	s_cbranch_execz .LBB0_304
.LBB0_353:                              ;   in Loop: Header=BB0_133 Depth=1
	.loc	1 68 56                         ; persistent_matmul.py:68:56
	v_add_co_u32 v98, s17, v96, v78
	s_delay_alu instid0(VALU_DEP_1) | instskip(SKIP_4) | instid1(SALU_CYCLE_1)
	v_add_co_ci_u32_e64 v99, null, v97, v79, s17
	.loc	1 73 31                         ; persistent_matmul.py:73:31
	v_cvt_f16_f32_e32 v100, v47
	.loc	1 74 25                         ; persistent_matmul.py:74:25
	global_store_b16 v[98:99], v100, off
	s_or_b32 exec_lo, exec_lo, s49
	.loc	1 69 43                         ; persistent_matmul.py:69:43
	s_and_b32 s17, s16, s7
	.loc	1 74 25                         ; persistent_matmul.py:74:25
	s_and_saveexec_b32 s49, s17
	s_cbranch_execz .LBB0_305
.LBB0_354:                              ;   in Loop: Header=BB0_133 Depth=1
	.loc	1 68 56                         ; persistent_matmul.py:68:56
	v_add_co_u32 v98, s17, v96, v80
	s_delay_alu instid0(VALU_DEP_1) | instskip(SKIP_4) | instid1(SALU_CYCLE_1)
	v_add_co_ci_u32_e64 v99, null, v97, v81, s17
	.loc	1 73 31                         ; persistent_matmul.py:73:31
	v_cvt_f16_f32_e32 v100, v32
	.loc	1 74 25                         ; persistent_matmul.py:74:25
	global_store_b16 v[98:99], v100, off
	s_or_b32 exec_lo, exec_lo, s49
	.loc	1 69 43                         ; persistent_matmul.py:69:43
	s_and_b32 s17, s16, s8
	.loc	1 74 25                         ; persistent_matmul.py:74:25
	s_and_saveexec_b32 s49, s17
	s_cbranch_execz .LBB0_306
.LBB0_355:                              ;   in Loop: Header=BB0_133 Depth=1
	.loc	1 68 56                         ; persistent_matmul.py:68:56
	v_add_co_u32 v98, s17, v96, v82
	s_delay_alu instid0(VALU_DEP_1) | instskip(SKIP_4) | instid1(SALU_CYCLE_1)
	v_add_co_ci_u32_e64 v99, null, v97, v83, s17
	.loc	1 73 31                         ; persistent_matmul.py:73:31
	v_cvt_f16_f32_e32 v100, v33
	.loc	1 74 25                         ; persistent_matmul.py:74:25
	global_store_b16 v[98:99], v100, off
	s_or_b32 exec_lo, exec_lo, s49
	.loc	1 69 43                         ; persistent_matmul.py:69:43
	s_and_b32 s17, s16, s9
	.loc	1 74 25                         ; persistent_matmul.py:74:25
	s_and_saveexec_b32 s49, s17
	s_cbranch_execz .LBB0_307
.LBB0_356:                              ;   in Loop: Header=BB0_133 Depth=1
	.loc	1 68 56                         ; persistent_matmul.py:68:56
	v_add_co_u32 v98, s17, v96, v84
	s_delay_alu instid0(VALU_DEP_1) | instskip(SKIP_4) | instid1(SALU_CYCLE_1)
	v_add_co_ci_u32_e64 v99, null, v97, v85, s17
	.loc	1 73 31                         ; persistent_matmul.py:73:31
	v_cvt_f16_f32_e32 v100, v34
	.loc	1 74 25                         ; persistent_matmul.py:74:25
	global_store_b16 v[98:99], v100, off
	s_or_b32 exec_lo, exec_lo, s49
	.loc	1 69 43                         ; persistent_matmul.py:69:43
	s_and_b32 s17, s16, s10
	.loc	1 74 25                         ; persistent_matmul.py:74:25
	s_and_saveexec_b32 s49, s17
	s_cbranch_execz .LBB0_308
.LBB0_357:                              ;   in Loop: Header=BB0_133 Depth=1
	.loc	1 68 56                         ; persistent_matmul.py:68:56
	v_add_co_u32 v98, s17, v96, v86
	s_delay_alu instid0(VALU_DEP_1) | instskip(SKIP_4) | instid1(SALU_CYCLE_1)
	v_add_co_ci_u32_e64 v99, null, v97, v87, s17
	.loc	1 73 31                         ; persistent_matmul.py:73:31
	v_cvt_f16_f32_e32 v100, v35
	.loc	1 74 25                         ; persistent_matmul.py:74:25
	global_store_b16 v[98:99], v100, off
	s_or_b32 exec_lo, exec_lo, s49
	.loc	1 69 43                         ; persistent_matmul.py:69:43
	s_and_b32 s17, s16, s11
	.loc	1 74 25                         ; persistent_matmul.py:74:25
	s_and_saveexec_b32 s49, s17
	s_cbranch_execz .LBB0_309
.LBB0_358:                              ;   in Loop: Header=BB0_133 Depth=1
	.loc	1 68 56                         ; persistent_matmul.py:68:56
	v_add_co_u32 v98, s17, v96, v88
	s_delay_alu instid0(VALU_DEP_1) | instskip(SKIP_4) | instid1(SALU_CYCLE_1)
	v_add_co_ci_u32_e64 v99, null, v97, v89, s17
	.loc	1 73 31                         ; persistent_matmul.py:73:31
	v_cvt_f16_f32_e32 v100, v36
	.loc	1 74 25                         ; persistent_matmul.py:74:25
	global_store_b16 v[98:99], v100, off
	s_or_b32 exec_lo, exec_lo, s49
	.loc	1 69 43                         ; persistent_matmul.py:69:43
	s_and_b32 s17, s16, s12
	.loc	1 74 25                         ; persistent_matmul.py:74:25
	s_and_saveexec_b32 s49, s17
	s_cbranch_execz .LBB0_310
.LBB0_359:                              ;   in Loop: Header=BB0_133 Depth=1
	.loc	1 68 56                         ; persistent_matmul.py:68:56
	v_add_co_u32 v98, s17, v96, v90
	s_delay_alu instid0(VALU_DEP_1) | instskip(SKIP_4) | instid1(SALU_CYCLE_1)
	v_add_co_ci_u32_e64 v99, null, v97, v91, s17
	.loc	1 73 31                         ; persistent_matmul.py:73:31
	v_cvt_f16_f32_e32 v100, v37
	.loc	1 74 25                         ; persistent_matmul.py:74:25
	global_store_b16 v[98:99], v100, off
	s_or_b32 exec_lo, exec_lo, s49
	.loc	1 69 43                         ; persistent_matmul.py:69:43
	s_and_b32 s17, s16, s13
	.loc	1 74 25                         ; persistent_matmul.py:74:25
	s_and_saveexec_b32 s49, s17
	s_cbranch_execz .LBB0_311
.LBB0_360:                              ;   in Loop: Header=BB0_133 Depth=1
	.loc	1 68 56                         ; persistent_matmul.py:68:56
	v_add_co_u32 v98, s17, v96, v92
	s_delay_alu instid0(VALU_DEP_1) | instskip(SKIP_4) | instid1(SALU_CYCLE_1)
	v_add_co_ci_u32_e64 v99, null, v97, v93, s17
	.loc	1 73 31                         ; persistent_matmul.py:73:31
	v_cvt_f16_f32_e32 v100, v38
	.loc	1 74 25                         ; persistent_matmul.py:74:25
	global_store_b16 v[98:99], v100, off
	s_or_b32 exec_lo, exec_lo, s49
	.loc	1 69 43                         ; persistent_matmul.py:69:43
	s_and_b32 s16, s16, s14
	.loc	1 74 25                         ; persistent_matmul.py:74:25
	s_and_saveexec_b32 s17, s16
	s_cbranch_execnz .LBB0_312
	s_branch .LBB0_313
.LBB0_361:                              ;   in Loop: Header=BB0_133 Depth=1
	.loc	1 68 56                         ; persistent_matmul.py:68:56
	v_add_co_u32 v98, s17, v96, v64
	s_delay_alu instid0(VALU_DEP_1) | instskip(SKIP_4) | instid1(SALU_CYCLE_1)
	v_add_co_ci_u32_e64 v99, null, v97, v65, s17
	.loc	1 73 31                         ; persistent_matmul.py:73:31
	v_cvt_f16_f32_e32 v100, v24
	.loc	1 74 25                         ; persistent_matmul.py:74:25
	global_store_b16 v[98:99], v100, off
	s_or_b32 exec_lo, exec_lo, s49
	.loc	1 69 43                         ; persistent_matmul.py:69:43
	s_and_b32 s17, s16, s0
	.loc	1 74 25                         ; persistent_matmul.py:74:25
	s_and_saveexec_b32 s49, s17
	s_cbranch_execz .LBB0_315
.LBB0_362:                              ;   in Loop: Header=BB0_133 Depth=1
	.loc	1 68 56                         ; persistent_matmul.py:68:56
	v_add_co_u32 v98, s17, v96, v66
	s_delay_alu instid0(VALU_DEP_1) | instskip(SKIP_4) | instid1(SALU_CYCLE_1)
	v_add_co_ci_u32_e64 v99, null, v97, v67, s17
	.loc	1 73 31                         ; persistent_matmul.py:73:31
	v_cvt_f16_f32_e32 v100, v25
	.loc	1 74 25                         ; persistent_matmul.py:74:25
	global_store_b16 v[98:99], v100, off
	s_or_b32 exec_lo, exec_lo, s49
	.loc	1 69 43                         ; persistent_matmul.py:69:43
	s_and_b32 s17, s16, s1
	.loc	1 74 25                         ; persistent_matmul.py:74:25
	s_and_saveexec_b32 s49, s17
	s_cbranch_execz .LBB0_316
.LBB0_363:                              ;   in Loop: Header=BB0_133 Depth=1
	.loc	1 68 56                         ; persistent_matmul.py:68:56
	v_add_co_u32 v98, s17, v96, v68
	s_delay_alu instid0(VALU_DEP_1) | instskip(SKIP_4) | instid1(SALU_CYCLE_1)
	v_add_co_ci_u32_e64 v99, null, v97, v69, s17
	.loc	1 73 31                         ; persistent_matmul.py:73:31
	v_cvt_f16_f32_e32 v100, v26
	.loc	1 74 25                         ; persistent_matmul.py:74:25
	global_store_b16 v[98:99], v100, off
	s_or_b32 exec_lo, exec_lo, s49
	.loc	1 69 43                         ; persistent_matmul.py:69:43
	s_and_b32 s17, s16, s2
	.loc	1 74 25                         ; persistent_matmul.py:74:25
	s_and_saveexec_b32 s49, s17
	s_cbranch_execz .LBB0_317
.LBB0_364:                              ;   in Loop: Header=BB0_133 Depth=1
	.loc	1 68 56                         ; persistent_matmul.py:68:56
	v_add_co_u32 v98, s17, v96, v70
	s_delay_alu instid0(VALU_DEP_1) | instskip(SKIP_4) | instid1(SALU_CYCLE_1)
	v_add_co_ci_u32_e64 v99, null, v97, v71, s17
	.loc	1 73 31                         ; persistent_matmul.py:73:31
	v_cvt_f16_f32_e32 v100, v27
	.loc	1 74 25                         ; persistent_matmul.py:74:25
	global_store_b16 v[98:99], v100, off
	s_or_b32 exec_lo, exec_lo, s49
	.loc	1 69 43                         ; persistent_matmul.py:69:43
	s_and_b32 s17, s16, s3
	.loc	1 74 25                         ; persistent_matmul.py:74:25
	s_and_saveexec_b32 s49, s17
	s_cbranch_execz .LBB0_318
.LBB0_365:                              ;   in Loop: Header=BB0_133 Depth=1
	.loc	1 68 56                         ; persistent_matmul.py:68:56
	v_add_co_u32 v98, s17, v96, v72
	s_delay_alu instid0(VALU_DEP_1) | instskip(SKIP_4) | instid1(SALU_CYCLE_1)
	v_add_co_ci_u32_e64 v99, null, v97, v73, s17
	.loc	1 73 31                         ; persistent_matmul.py:73:31
	v_cvt_f16_f32_e32 v100, v28
	.loc	1 74 25                         ; persistent_matmul.py:74:25
	global_store_b16 v[98:99], v100, off
	s_or_b32 exec_lo, exec_lo, s49
	.loc	1 69 43                         ; persistent_matmul.py:69:43
	s_and_b32 s17, s16, s4
	.loc	1 74 25                         ; persistent_matmul.py:74:25
	s_and_saveexec_b32 s49, s17
	s_cbranch_execz .LBB0_319
.LBB0_366:                              ;   in Loop: Header=BB0_133 Depth=1
	.loc	1 68 56                         ; persistent_matmul.py:68:56
	v_add_co_u32 v98, s17, v96, v74
	s_delay_alu instid0(VALU_DEP_1) | instskip(SKIP_4) | instid1(SALU_CYCLE_1)
	v_add_co_ci_u32_e64 v99, null, v97, v75, s17
	.loc	1 73 31                         ; persistent_matmul.py:73:31
	v_cvt_f16_f32_e32 v100, v29
	.loc	1 74 25                         ; persistent_matmul.py:74:25
	global_store_b16 v[98:99], v100, off
	s_or_b32 exec_lo, exec_lo, s49
	.loc	1 69 43                         ; persistent_matmul.py:69:43
	s_and_b32 s17, s16, s5
	.loc	1 74 25                         ; persistent_matmul.py:74:25
	s_and_saveexec_b32 s49, s17
	s_cbranch_execz .LBB0_320
.LBB0_367:                              ;   in Loop: Header=BB0_133 Depth=1
	.loc	1 68 56                         ; persistent_matmul.py:68:56
	v_add_co_u32 v98, s17, v96, v76
	s_delay_alu instid0(VALU_DEP_1) | instskip(SKIP_4) | instid1(SALU_CYCLE_1)
	v_add_co_ci_u32_e64 v99, null, v97, v77, s17
	.loc	1 73 31                         ; persistent_matmul.py:73:31
	v_cvt_f16_f32_e32 v100, v30
	.loc	1 74 25                         ; persistent_matmul.py:74:25
	global_store_b16 v[98:99], v100, off
	s_or_b32 exec_lo, exec_lo, s49
	.loc	1 69 43                         ; persistent_matmul.py:69:43
	s_and_b32 s17, s16, s6
	.loc	1 74 25                         ; persistent_matmul.py:74:25
	s_and_saveexec_b32 s49, s17
	s_cbranch_execz .LBB0_321
.LBB0_368:                              ;   in Loop: Header=BB0_133 Depth=1
	.loc	1 68 56                         ; persistent_matmul.py:68:56
	v_add_co_u32 v98, s17, v96, v78
	s_delay_alu instid0(VALU_DEP_1) | instskip(SKIP_4) | instid1(SALU_CYCLE_1)
	v_add_co_ci_u32_e64 v99, null, v97, v79, s17
	.loc	1 73 31                         ; persistent_matmul.py:73:31
	v_cvt_f16_f32_e32 v100, v31
	.loc	1 74 25                         ; persistent_matmul.py:74:25
	global_store_b16 v[98:99], v100, off
	s_or_b32 exec_lo, exec_lo, s49
	.loc	1 69 43                         ; persistent_matmul.py:69:43
	s_and_b32 s17, s16, s7
	.loc	1 74 25                         ; persistent_matmul.py:74:25
	s_and_saveexec_b32 s49, s17
	s_cbranch_execz .LBB0_322
.LBB0_369:                              ;   in Loop: Header=BB0_133 Depth=1
	.loc	1 68 56                         ; persistent_matmul.py:68:56
	v_add_co_u32 v98, s17, v96, v80
	s_delay_alu instid0(VALU_DEP_1) | instskip(SKIP_4) | instid1(SALU_CYCLE_1)
	v_add_co_ci_u32_e64 v99, null, v97, v81, s17
	.loc	1 73 31                         ; persistent_matmul.py:73:31
	v_cvt_f16_f32_e32 v100, v16
	.loc	1 74 25                         ; persistent_matmul.py:74:25
	global_store_b16 v[98:99], v100, off
	s_or_b32 exec_lo, exec_lo, s49
	.loc	1 69 43                         ; persistent_matmul.py:69:43
	s_and_b32 s17, s16, s8
	.loc	1 74 25                         ; persistent_matmul.py:74:25
	s_and_saveexec_b32 s49, s17
	s_cbranch_execz .LBB0_323
.LBB0_370:                              ;   in Loop: Header=BB0_133 Depth=1
	.loc	1 68 56                         ; persistent_matmul.py:68:56
	v_add_co_u32 v98, s17, v96, v82
	s_delay_alu instid0(VALU_DEP_1) | instskip(SKIP_4) | instid1(SALU_CYCLE_1)
	v_add_co_ci_u32_e64 v99, null, v97, v83, s17
	.loc	1 73 31                         ; persistent_matmul.py:73:31
	v_cvt_f16_f32_e32 v100, v17
	.loc	1 74 25                         ; persistent_matmul.py:74:25
	global_store_b16 v[98:99], v100, off
	s_or_b32 exec_lo, exec_lo, s49
	.loc	1 69 43                         ; persistent_matmul.py:69:43
	s_and_b32 s17, s16, s9
	.loc	1 74 25                         ; persistent_matmul.py:74:25
	s_and_saveexec_b32 s49, s17
	s_cbranch_execz .LBB0_324
.LBB0_371:                              ;   in Loop: Header=BB0_133 Depth=1
	.loc	1 68 56                         ; persistent_matmul.py:68:56
	v_add_co_u32 v98, s17, v96, v84
	s_delay_alu instid0(VALU_DEP_1) | instskip(SKIP_4) | instid1(SALU_CYCLE_1)
	v_add_co_ci_u32_e64 v99, null, v97, v85, s17
	.loc	1 73 31                         ; persistent_matmul.py:73:31
	v_cvt_f16_f32_e32 v100, v18
	.loc	1 74 25                         ; persistent_matmul.py:74:25
	global_store_b16 v[98:99], v100, off
	s_or_b32 exec_lo, exec_lo, s49
	.loc	1 69 43                         ; persistent_matmul.py:69:43
	s_and_b32 s17, s16, s10
	.loc	1 74 25                         ; persistent_matmul.py:74:25
	s_and_saveexec_b32 s49, s17
	s_cbranch_execz .LBB0_325
.LBB0_372:                              ;   in Loop: Header=BB0_133 Depth=1
	.loc	1 68 56                         ; persistent_matmul.py:68:56
	v_add_co_u32 v98, s17, v96, v86
	s_delay_alu instid0(VALU_DEP_1) | instskip(SKIP_4) | instid1(SALU_CYCLE_1)
	v_add_co_ci_u32_e64 v99, null, v97, v87, s17
	.loc	1 73 31                         ; persistent_matmul.py:73:31
	v_cvt_f16_f32_e32 v100, v19
	.loc	1 74 25                         ; persistent_matmul.py:74:25
	global_store_b16 v[98:99], v100, off
	s_or_b32 exec_lo, exec_lo, s49
	.loc	1 69 43                         ; persistent_matmul.py:69:43
	s_and_b32 s17, s16, s11
	.loc	1 74 25                         ; persistent_matmul.py:74:25
	s_and_saveexec_b32 s49, s17
	s_cbranch_execz .LBB0_326
.LBB0_373:                              ;   in Loop: Header=BB0_133 Depth=1
	.loc	1 68 56                         ; persistent_matmul.py:68:56
	v_add_co_u32 v98, s17, v96, v88
	s_delay_alu instid0(VALU_DEP_1) | instskip(SKIP_4) | instid1(SALU_CYCLE_1)
	v_add_co_ci_u32_e64 v99, null, v97, v89, s17
	.loc	1 73 31                         ; persistent_matmul.py:73:31
	v_cvt_f16_f32_e32 v100, v20
	.loc	1 74 25                         ; persistent_matmul.py:74:25
	global_store_b16 v[98:99], v100, off
	s_or_b32 exec_lo, exec_lo, s49
	.loc	1 69 43                         ; persistent_matmul.py:69:43
	s_and_b32 s17, s16, s12
	.loc	1 74 25                         ; persistent_matmul.py:74:25
	s_and_saveexec_b32 s49, s17
	s_cbranch_execz .LBB0_327
.LBB0_374:                              ;   in Loop: Header=BB0_133 Depth=1
	.loc	1 68 56                         ; persistent_matmul.py:68:56
	v_add_co_u32 v98, s17, v96, v90
	s_delay_alu instid0(VALU_DEP_1) | instskip(SKIP_4) | instid1(SALU_CYCLE_1)
	v_add_co_ci_u32_e64 v99, null, v97, v91, s17
	.loc	1 73 31                         ; persistent_matmul.py:73:31
	v_cvt_f16_f32_e32 v100, v21
	.loc	1 74 25                         ; persistent_matmul.py:74:25
	global_store_b16 v[98:99], v100, off
	s_or_b32 exec_lo, exec_lo, s49
	.loc	1 69 43                         ; persistent_matmul.py:69:43
	s_and_b32 s17, s16, s13
	.loc	1 74 25                         ; persistent_matmul.py:74:25
	s_and_saveexec_b32 s49, s17
	s_cbranch_execz .LBB0_328
.LBB0_375:                              ;   in Loop: Header=BB0_133 Depth=1
	.loc	1 68 56                         ; persistent_matmul.py:68:56
	v_add_co_u32 v98, s17, v96, v92
	s_delay_alu instid0(VALU_DEP_1) | instskip(SKIP_4) | instid1(SALU_CYCLE_1)
	v_add_co_ci_u32_e64 v99, null, v97, v93, s17
	.loc	1 73 31                         ; persistent_matmul.py:73:31
	v_cvt_f16_f32_e32 v100, v22
	.loc	1 74 25                         ; persistent_matmul.py:74:25
	global_store_b16 v[98:99], v100, off
	s_or_b32 exec_lo, exec_lo, s49
	.loc	1 69 43                         ; persistent_matmul.py:69:43
	s_and_b32 s16, s16, s14
	.loc	1 74 25                         ; persistent_matmul.py:74:25
	s_and_saveexec_b32 s17, s16
	s_cbranch_execnz .LBB0_329
	s_branch .LBB0_330
.LBB0_376:                              ;   in Loop: Header=BB0_133 Depth=1
	.loc	1 68 56                         ; persistent_matmul.py:68:56
	v_add_co_u32 v64, vcc_lo, v96, v64
	s_delay_alu instid0(VALU_DEP_1) | instskip(SKIP_4) | instid1(SALU_CYCLE_1)
	v_add_co_ci_u32_e64 v65, null, v97, v65, vcc_lo
	.loc	1 73 31                         ; persistent_matmul.py:73:31
	v_cvt_f16_f32_e32 v98, v8
	.loc	1 74 25                         ; persistent_matmul.py:74:25
	global_store_b16 v[64:65], v98, off
	s_or_b32 exec_lo, exec_lo, s17
	.loc	1 69 43                         ; persistent_matmul.py:69:43
	s_and_b32 s17, s16, s0
	.loc	1 74 25                         ; persistent_matmul.py:74:25
	s_and_saveexec_b32 s0, s17
	s_cbranch_execz .LBB0_332
.LBB0_377:                              ;   in Loop: Header=BB0_133 Depth=1
	.loc	1 68 56                         ; persistent_matmul.py:68:56
	v_add_co_u32 v64, vcc_lo, v96, v66
	s_delay_alu instid0(VALU_DEP_1) | instskip(SKIP_4) | instid1(SALU_CYCLE_1)
	v_add_co_ci_u32_e64 v65, null, v97, v67, vcc_lo
	.loc	1 73 31                         ; persistent_matmul.py:73:31
	v_cvt_f16_f32_e32 v66, v9
	.loc	1 74 25                         ; persistent_matmul.py:74:25
	global_store_b16 v[64:65], v66, off
	s_or_b32 exec_lo, exec_lo, s0
	.loc	1 69 43                         ; persistent_matmul.py:69:43
	s_and_b32 s1, s16, s1
	.loc	1 74 25                         ; persistent_matmul.py:74:25
	s_and_saveexec_b32 s0, s1
	s_cbranch_execz .LBB0_333
.LBB0_378:                              ;   in Loop: Header=BB0_133 Depth=1
	.loc	1 68 56                         ; persistent_matmul.py:68:56
	v_add_co_u32 v64, vcc_lo, v96, v68
	s_delay_alu instid0(VALU_DEP_1) | instskip(SKIP_4) | instid1(SALU_CYCLE_1)
	v_add_co_ci_u32_e64 v65, null, v97, v69, vcc_lo
	.loc	1 73 31                         ; persistent_matmul.py:73:31
	v_cvt_f16_f32_e32 v66, v10
	.loc	1 74 25                         ; persistent_matmul.py:74:25
	global_store_b16 v[64:65], v66, off
	s_or_b32 exec_lo, exec_lo, s0
	.loc	1 69 43                         ; persistent_matmul.py:69:43
	s_and_b32 s1, s16, s2
	.loc	1 74 25                         ; persistent_matmul.py:74:25
	s_and_saveexec_b32 s0, s1
	s_cbranch_execz .LBB0_334
.LBB0_379:                              ;   in Loop: Header=BB0_133 Depth=1
	.loc	1 68 56                         ; persistent_matmul.py:68:56
	v_add_co_u32 v64, vcc_lo, v96, v70
	s_delay_alu instid0(VALU_DEP_1) | instskip(SKIP_4) | instid1(SALU_CYCLE_1)
	v_add_co_ci_u32_e64 v65, null, v97, v71, vcc_lo
	.loc	1 73 31                         ; persistent_matmul.py:73:31
	v_cvt_f16_f32_e32 v66, v11
	.loc	1 74 25                         ; persistent_matmul.py:74:25
	global_store_b16 v[64:65], v66, off
	s_or_b32 exec_lo, exec_lo, s0
	.loc	1 69 43                         ; persistent_matmul.py:69:43
	s_and_b32 s1, s16, s3
	.loc	1 74 25                         ; persistent_matmul.py:74:25
	s_and_saveexec_b32 s0, s1
	s_cbranch_execz .LBB0_335
.LBB0_380:                              ;   in Loop: Header=BB0_133 Depth=1
	.loc	1 68 56                         ; persistent_matmul.py:68:56
	v_add_co_u32 v64, vcc_lo, v96, v72
	s_delay_alu instid0(VALU_DEP_1) | instskip(SKIP_4) | instid1(SALU_CYCLE_1)
	v_add_co_ci_u32_e64 v65, null, v97, v73, vcc_lo
	.loc	1 73 31                         ; persistent_matmul.py:73:31
	v_cvt_f16_f32_e32 v66, v12
	.loc	1 74 25                         ; persistent_matmul.py:74:25
	global_store_b16 v[64:65], v66, off
	s_or_b32 exec_lo, exec_lo, s0
	.loc	1 69 43                         ; persistent_matmul.py:69:43
	s_and_b32 s1, s16, s4
	.loc	1 74 25                         ; persistent_matmul.py:74:25
	s_and_saveexec_b32 s0, s1
	s_cbranch_execz .LBB0_336
.LBB0_381:                              ;   in Loop: Header=BB0_133 Depth=1
	.loc	1 68 56                         ; persistent_matmul.py:68:56
	v_add_co_u32 v64, vcc_lo, v96, v74
	s_delay_alu instid0(VALU_DEP_1) | instskip(SKIP_4) | instid1(SALU_CYCLE_1)
	v_add_co_ci_u32_e64 v65, null, v97, v75, vcc_lo
	.loc	1 73 31                         ; persistent_matmul.py:73:31
	v_cvt_f16_f32_e32 v66, v13
	.loc	1 74 25                         ; persistent_matmul.py:74:25
	global_store_b16 v[64:65], v66, off
	s_or_b32 exec_lo, exec_lo, s0
	.loc	1 69 43                         ; persistent_matmul.py:69:43
	s_and_b32 s1, s16, s5
	.loc	1 74 25                         ; persistent_matmul.py:74:25
	s_and_saveexec_b32 s0, s1
	s_cbranch_execz .LBB0_337
.LBB0_382:                              ;   in Loop: Header=BB0_133 Depth=1
	.loc	1 68 56                         ; persistent_matmul.py:68:56
	v_add_co_u32 v64, vcc_lo, v96, v76
	s_delay_alu instid0(VALU_DEP_1) | instskip(SKIP_4) | instid1(SALU_CYCLE_1)
	v_add_co_ci_u32_e64 v65, null, v97, v77, vcc_lo
	.loc	1 73 31                         ; persistent_matmul.py:73:31
	v_cvt_f16_f32_e32 v66, v14
	.loc	1 74 25                         ; persistent_matmul.py:74:25
	global_store_b16 v[64:65], v66, off
	s_or_b32 exec_lo, exec_lo, s0
	.loc	1 69 43                         ; persistent_matmul.py:69:43
	s_and_b32 s1, s16, s6
	.loc	1 74 25                         ; persistent_matmul.py:74:25
	s_and_saveexec_b32 s0, s1
	s_cbranch_execz .LBB0_338
.LBB0_383:                              ;   in Loop: Header=BB0_133 Depth=1
	.loc	1 68 56                         ; persistent_matmul.py:68:56
	v_add_co_u32 v64, vcc_lo, v96, v78
	s_delay_alu instid0(VALU_DEP_1) | instskip(SKIP_4) | instid1(SALU_CYCLE_1)
	v_add_co_ci_u32_e64 v65, null, v97, v79, vcc_lo
	.loc	1 73 31                         ; persistent_matmul.py:73:31
	v_cvt_f16_f32_e32 v66, v15
	.loc	1 74 25                         ; persistent_matmul.py:74:25
	global_store_b16 v[64:65], v66, off
	s_or_b32 exec_lo, exec_lo, s0
	.loc	1 69 43                         ; persistent_matmul.py:69:43
	s_and_b32 s1, s16, s7
	.loc	1 74 25                         ; persistent_matmul.py:74:25
	s_and_saveexec_b32 s0, s1
	s_cbranch_execz .LBB0_339
.LBB0_384:                              ;   in Loop: Header=BB0_133 Depth=1
	.loc	1 68 56                         ; persistent_matmul.py:68:56
	v_add_co_u32 v64, vcc_lo, v96, v80
	s_delay_alu instid0(VALU_DEP_1) | instskip(SKIP_4) | instid1(SALU_CYCLE_1)
	v_add_co_ci_u32_e64 v65, null, v97, v81, vcc_lo
	.loc	1 73 31                         ; persistent_matmul.py:73:31
	v_cvt_f16_f32_e32 v66, v0
	.loc	1 74 25                         ; persistent_matmul.py:74:25
	global_store_b16 v[64:65], v66, off
	s_or_b32 exec_lo, exec_lo, s0
	.loc	1 69 43                         ; persistent_matmul.py:69:43
	s_and_b32 s1, s16, s8
	.loc	1 74 25                         ; persistent_matmul.py:74:25
	s_and_saveexec_b32 s0, s1
	s_cbranch_execz .LBB0_340
.LBB0_385:                              ;   in Loop: Header=BB0_133 Depth=1
	.loc	1 68 56                         ; persistent_matmul.py:68:56
	v_add_co_u32 v64, vcc_lo, v96, v82
	s_delay_alu instid0(VALU_DEP_1) | instskip(SKIP_4) | instid1(SALU_CYCLE_1)
	v_add_co_ci_u32_e64 v65, null, v97, v83, vcc_lo
	.loc	1 73 31                         ; persistent_matmul.py:73:31
	v_cvt_f16_f32_e32 v66, v1
	.loc	1 74 25                         ; persistent_matmul.py:74:25
	global_store_b16 v[64:65], v66, off
	s_or_b32 exec_lo, exec_lo, s0
	.loc	1 69 43                         ; persistent_matmul.py:69:43
	s_and_b32 s1, s16, s9
	.loc	1 74 25                         ; persistent_matmul.py:74:25
	s_and_saveexec_b32 s0, s1
	s_cbranch_execz .LBB0_341
.LBB0_386:                              ;   in Loop: Header=BB0_133 Depth=1
	.loc	1 68 56                         ; persistent_matmul.py:68:56
	v_add_co_u32 v64, vcc_lo, v96, v84
	s_delay_alu instid0(VALU_DEP_1) | instskip(SKIP_4) | instid1(SALU_CYCLE_1)
	v_add_co_ci_u32_e64 v65, null, v97, v85, vcc_lo
	.loc	1 73 31                         ; persistent_matmul.py:73:31
	v_cvt_f16_f32_e32 v66, v2
	.loc	1 74 25                         ; persistent_matmul.py:74:25
	global_store_b16 v[64:65], v66, off
	s_or_b32 exec_lo, exec_lo, s0
	.loc	1 69 43                         ; persistent_matmul.py:69:43
	s_and_b32 s1, s16, s10
	.loc	1 74 25                         ; persistent_matmul.py:74:25
	s_and_saveexec_b32 s0, s1
	s_cbranch_execz .LBB0_342
.LBB0_387:                              ;   in Loop: Header=BB0_133 Depth=1
	.loc	1 68 56                         ; persistent_matmul.py:68:56
	v_add_co_u32 v64, vcc_lo, v96, v86
	s_delay_alu instid0(VALU_DEP_1) | instskip(SKIP_4) | instid1(SALU_CYCLE_1)
	v_add_co_ci_u32_e64 v65, null, v97, v87, vcc_lo
	.loc	1 73 31                         ; persistent_matmul.py:73:31
	v_cvt_f16_f32_e32 v66, v3
	.loc	1 74 25                         ; persistent_matmul.py:74:25
	global_store_b16 v[64:65], v66, off
	s_or_b32 exec_lo, exec_lo, s0
	.loc	1 69 43                         ; persistent_matmul.py:69:43
	s_and_b32 s1, s16, s11
	.loc	1 74 25                         ; persistent_matmul.py:74:25
	s_and_saveexec_b32 s0, s1
	s_cbranch_execz .LBB0_343
.LBB0_388:                              ;   in Loop: Header=BB0_133 Depth=1
	.loc	1 68 56                         ; persistent_matmul.py:68:56
	v_add_co_u32 v64, vcc_lo, v96, v88
	s_delay_alu instid0(VALU_DEP_1) | instskip(SKIP_4) | instid1(SALU_CYCLE_1)
	v_add_co_ci_u32_e64 v65, null, v97, v89, vcc_lo
	.loc	1 73 31                         ; persistent_matmul.py:73:31
	v_cvt_f16_f32_e32 v66, v4
	.loc	1 74 25                         ; persistent_matmul.py:74:25
	global_store_b16 v[64:65], v66, off
	s_or_b32 exec_lo, exec_lo, s0
	.loc	1 69 43                         ; persistent_matmul.py:69:43
	s_and_b32 s1, s16, s12
	.loc	1 74 25                         ; persistent_matmul.py:74:25
	s_and_saveexec_b32 s0, s1
	s_cbranch_execz .LBB0_344
.LBB0_389:                              ;   in Loop: Header=BB0_133 Depth=1
	.loc	1 68 56                         ; persistent_matmul.py:68:56
	v_add_co_u32 v64, vcc_lo, v96, v90
	s_delay_alu instid0(VALU_DEP_1) | instskip(SKIP_4) | instid1(SALU_CYCLE_1)
	v_add_co_ci_u32_e64 v65, null, v97, v91, vcc_lo
	.loc	1 73 31                         ; persistent_matmul.py:73:31
	v_cvt_f16_f32_e32 v66, v5
	.loc	1 74 25                         ; persistent_matmul.py:74:25
	global_store_b16 v[64:65], v66, off
	s_or_b32 exec_lo, exec_lo, s0
	.loc	1 69 43                         ; persistent_matmul.py:69:43
	s_and_b32 s1, s16, s13
	.loc	1 74 25                         ; persistent_matmul.py:74:25
	s_and_saveexec_b32 s0, s1
	s_cbranch_execz .LBB0_345
.LBB0_390:                              ;   in Loop: Header=BB0_133 Depth=1
	.loc	1 68 56                         ; persistent_matmul.py:68:56
	v_add_co_u32 v64, vcc_lo, v96, v92
	s_delay_alu instid0(VALU_DEP_1) | instskip(SKIP_4) | instid1(SALU_CYCLE_1)
	v_add_co_ci_u32_e64 v65, null, v97, v93, vcc_lo
	.loc	1 73 31                         ; persistent_matmul.py:73:31
	v_cvt_f16_f32_e32 v66, v6
	.loc	1 74 25                         ; persistent_matmul.py:74:25
	global_store_b16 v[64:65], v66, off
	s_or_b32 exec_lo, exec_lo, s0
	.loc	1 69 43                         ; persistent_matmul.py:69:43
	s_and_b32 s1, s16, s14
	.loc	1 74 25                         ; persistent_matmul.py:74:25
	s_and_saveexec_b32 s0, s1
	s_cbranch_execz .LBB0_131
.LBB0_391:                              ;   in Loop: Header=BB0_133 Depth=1
	.loc	1 68 56                         ; persistent_matmul.py:68:56
	v_add_co_u32 v64, vcc_lo, v96, v94
	s_delay_alu instid0(VALU_DEP_1)
	v_add_co_ci_u32_e64 v65, null, v97, v95, vcc_lo
	.loc	1 73 31                         ; persistent_matmul.py:73:31
	v_cvt_f16_f32_e32 v66, v7
	.loc	1 74 25                         ; persistent_matmul.py:74:25
	global_store_b16 v[64:65], v66, off
	s_branch .LBB0_131
.LBB0_392:                              ; %._crit_edge.loopexit
	.loc	1 0 25 is_stmt 0                ; persistent_matmul.py:0:25
	s_clause 0xe                            ; 60-byte Folded Reload
	scratch_load_b32 v130, off, off offset:492
	scratch_load_b32 v131, off, off offset:496
	;; [unrolled: 1-line block ×15, first 2 shown]
	.loc	1 64 21 is_stmt 1               ; persistent_matmul.py:64:21
	s_add_i32 s0, s44, 0x130
	s_branch .LBB0_394
.LBB0_393:
	.loc	1 0 21 is_stmt 0                ; persistent_matmul.py:0:21
	v_mov_b32_e32 v7, 0
	s_mov_b32 s0, s15
	s_delay_alu instid0(VALU_DEP_1)
	v_mov_b32_e32 v6, v7
	v_mov_b32_e32 v5, v7
	v_mov_b32_e32 v4, v7
	v_mov_b32_e32 v3, v7
	v_mov_b32_e32 v2, v7
	v_mov_b32_e32 v1, v7
	v_mov_b32_e32 v0, v7
	v_mov_b32_e32 v15, v7
	v_mov_b32_e32 v14, v7
	v_mov_b32_e32 v13, v7
	v_mov_b32_e32 v12, v7
	v_mov_b32_e32 v11, v7
	v_mov_b32_e32 v10, v7
	v_mov_b32_e32 v9, v7
	v_mov_b32_e32 v8, v7
	v_mov_b32_e32 v23, v7
	v_mov_b32_e32 v22, v7
	v_mov_b32_e32 v21, v7
	v_mov_b32_e32 v20, v7
	v_mov_b32_e32 v19, v7
	v_mov_b32_e32 v18, v7
	v_mov_b32_e32 v17, v7
	v_mov_b32_e32 v16, v7
	v_mov_b32_e32 v31, v7
	v_mov_b32_e32 v30, v7
	v_mov_b32_e32 v29, v7
	v_mov_b32_e32 v28, v7
	v_mov_b32_e32 v27, v7
	v_mov_b32_e32 v26, v7
	v_mov_b32_e32 v25, v7
	v_mov_b32_e32 v24, v7
	v_mov_b32_e32 v39, v7
	v_mov_b32_e32 v38, v7
	v_mov_b32_e32 v37, v7
	v_mov_b32_e32 v36, v7
	v_mov_b32_e32 v35, v7
	v_mov_b32_e32 v34, v7
	v_mov_b32_e32 v33, v7
	v_mov_b32_e32 v32, v7
	v_mov_b32_e32 v47, v7
	v_mov_b32_e32 v46, v7
	v_mov_b32_e32 v45, v7
	v_mov_b32_e32 v44, v7
	v_mov_b32_e32 v43, v7
	v_mov_b32_e32 v42, v7
	v_mov_b32_e32 v41, v7
	v_mov_b32_e32 v40, v7
	v_mov_b32_e32 v55, v7
	v_mov_b32_e32 v54, v7
	v_mov_b32_e32 v53, v7
	v_mov_b32_e32 v52, v7
	v_mov_b32_e32 v51, v7
	v_mov_b32_e32 v50, v7
	v_mov_b32_e32 v49, v7
	v_mov_b32_e32 v48, v7
	v_mov_b32_e32 v63, v7
	v_mov_b32_e32 v62, v7
	v_mov_b32_e32 v61, v7
	v_mov_b32_e32 v60, v7
	v_mov_b32_e32 v59, v7
	v_mov_b32_e32 v58, v7
	v_mov_b32_e32 v57, v7
	v_mov_b32_e32 v56, v7
.LBB0_394:                              ; %._crit_edge
	.loc	1 62 39 is_stmt 1               ; persistent_matmul.py:62:39
	s_and_not1_b32 vcc_lo, exec_lo, s35
	.loc	1 60 24                         ; persistent_matmul.py:60:24
	s_waitcnt vmcnt(0) lgkmcnt(0)
	s_waitcnt_vscnt null, 0x0
	s_barrier
	buffer_gl0_inv
	.loc	1 62 39                         ; persistent_matmul.py:62:39
	s_cbranch_vccnz .LBB0_396
; %bb.395:
	.loc	1 61 24                         ; persistent_matmul.py:61:24
	s_clause 0x3                            ; 16-byte Folded Reload
	scratch_load_b32 v64, off, off offset:684
	scratch_load_b32 v65, off, off offset:696
	scratch_load_b32 v113, off, off offset:688
	scratch_load_b32 v129, off, off offset:692
	v_dual_mov_b32 v242, v131 :: v_dual_mov_b32 v243, v184
	v_dual_mov_b32 v244, v185 :: v_dual_mov_b32 v245, v186
	;; [unrolled: 1-line block ×7, first 2 shown]
	v_mov_b32_e32 v241, v130
	s_waitcnt vmcnt(2)
	v_add3_u32 v128, 0, v65, v64
	ds_load_u16 v71, v128 offset:32384
	ds_load_u16 v70, v128 offset:31872
	ds_load_u16 v69, v128 offset:31360
	ds_load_u16 v79, v128 offset:32256
	ds_load_u16 v78, v128 offset:31744
	ds_load_u16 v68, v128 offset:30848
	ds_load_u16 v86, v128 offset:27776
	ds_load_u16 v95, v128 offset:28160
	ds_load_u16 v85, v128 offset:27264
	ds_load_u16 v81, v128 offset:25216
	ds_load_u16 v91, v128 offset:26112
	ds_load_u16 v90, v128 offset:25600
	ds_load_u16 v80, v128 offset:24704
	ds_load_u16 v98, v128 offset:21632
	ds_load_u16 v107, v128 offset:22016
	ds_load_u16 v97, v128 offset:21120
	ds_load_u16 v83, v128 offset:26240
	ds_load_u16 v92, v128 offset:26624
	ds_load_u16 v117, v128 offset:19072
	ds_load_u16 v126, v128 offset:19456
	ds_load_u16 v127, v128 offset:19968
	ds_load_u16 v116, v128 offset:18560
	ds_load_u16 v119, v128 offset:20096
	ds_load_u16 v104, v128 offset:20480
	ds_load_u16 v115, v128 offset:18048
	ds_load_u16 v125, v128 offset:18944
	ds_load_u16 v67, v128 offset:30336
	ds_load_u16 v76, v128 offset:30720
	ds_load_u16 v77, v128 offset:31232
	ds_load_u16 v66, v128 offset:29824
	ds_load_u16 v87, v128 offset:28288
	ds_load_u16 v72, v128 offset:28672
	.loc	1 60 24                         ; persistent_matmul.py:60:24
	s_waitcnt vmcnt(0)
	v_and_or_b32 v129, 0x870, v129, v113
	.loc	1 61 24                         ; persistent_matmul.py:61:24
	s_waitcnt lgkmcnt(24)
	ds_load_u16_d16_hi v95, v128 offset:28416
	ds_load_u16_d16_hi v86, v128 offset:28032
	ds_load_u16 v94, v128 offset:27648
	ds_load_u16 v93, v128 offset:27136
	;; [unrolled: 1-line block ×3, first 2 shown]
	s_waitcnt lgkmcnt(25)
	ds_load_u16_d16_hi v90, v128 offset:25856
	ds_load_u16 v84, v128 offset:26752
	s_waitcnt lgkmcnt(21)
	ds_load_u16_d16_hi v92, v128 offset:26880
	ds_load_u16_d16_hi v83, v128 offset:26496
	ds_load_u16 v73, v128 offset:29184
	ds_load_u16 v64, v128 offset:28800
	;; [unrolled: 1-line block ×8, first 2 shown]
	ds_load_u16_d16_hi v107, v128 offset:22272
	ds_load_u16_d16_hi v98, v128 offset:21888
	ds_load_u16 v100, v128 offset:22656
	ds_load_u16 v109, v128 offset:23040
	s_waitcnt lgkmcnt(26)
	ds_load_u16_d16_hi v67, v128 offset:30592
	s_waitcnt lgkmcnt(26)
	ds_load_u16_d16_hi v76, v128 offset:30976
	ds_load_u16 v75, v128 offset:30208
	ds_load_u16 v74, v128 offset:29696
	s_waitcnt lgkmcnt(25)
	ds_load_u16_d16_hi v72, v128 offset:28928
	ds_load_u16_d16_hi v87, v128 offset:28544
	;; [unrolled: 1-line block ×3, first 2 shown]
	ds_load_u16 v65, v128 offset:29312
	.loc	1 60 24                         ; persistent_matmul.py:60:24
	v_xad_u32 v137, v129, 16, 0
	v_add_nc_u32_e32 v138, 0, v129
	v_xad_u32 v139, 0x50, v129, 0
	ds_load_b128 v[156:159], v137
	ds_load_b128 v[152:155], v138
	;; [unrolled: 1-line block ×3, first 2 shown]
	v_xad_u32 v136, 0x70, v129, 0
	v_xad_u32 v192, v129, 32, 0
	v_xad_u32 v232, v129, 64, 0
	v_xad_u32 v240, 0x60, v129, 0
	.loc	1 61 24                         ; persistent_matmul.py:61:24
	s_waitcnt lgkmcnt(22)
	ds_load_u16_d16_hi v73, v128 offset:29440
	s_waitcnt lgkmcnt(22)
	ds_load_u16_d16_hi v64, v128 offset:29056
	ds_load_u16 v124, v128 offset:18432
	ds_load_u16 v114, v128 offset:17536
	;; [unrolled: 1-line block ×4, first 2 shown]
	ds_load_u16_d16_hi v125, v128 offset:19200
	ds_load_u16_d16_hi v115, v128 offset:18304
	ds_load_u16 v122, v128 offset:17408
	ds_load_u16 v121, v128 offset:16896
	s_waitcnt lgkmcnt(30)
	ds_load_u16_d16_hi v103, v128 offset:24448
	s_waitcnt lgkmcnt(30)
	ds_load_u16_d16_hi v88, v128 offset:24832
	ds_load_u16 v111, v128 offset:24064
	ds_load_u16 v110, v128 offset:23552
	s_waitcnt lgkmcnt(29)
	ds_load_u16_d16_hi v108, v128 offset:22784
	ds_load_u16_d16_hi v99, v128 offset:22400
	;; [unrolled: 1-line block ×3, first 2 shown]
	ds_load_u16 v101, v128 offset:23168
	s_waitcnt lgkmcnt(29)
	ds_load_u16_d16_hi v109, v128 offset:23296
	ds_load_u16_d16_hi v100, v128 offset:22912
	ds_load_u16 v105, v128 offset:20992
	ds_load_u16_d16_hi v126, v128 offset:19712
	ds_load_u16 v96, v128 offset:20608
	ds_load_u16_d16_hi v104, v128 offset:20736
	ds_load_u16_d16_hi v119, v128 offset:20352
	s_waitcnt lgkmcnt(20)
	ds_load_u16_d16_hi v123, v128 offset:18176
	ds_load_u16 v106, v128 offset:21504
	ds_load_u16 v118, v128 offset:19584
	ds_load_u16_d16_hi v117, v128 offset:19328
	ds_load_u16_d16_hi v116, v128 offset:18816
	;; [unrolled: 1-line block ×3, first 2 shown]
	ds_load_u16 v120, v128 offset:16384
	ds_load_u16 v113, v128 offset:17024
	s_waitcnt lgkmcnt(23)
	ds_load_u16_d16_hi v121, v128 offset:17152
	ds_load_u16_d16_hi v112, v128 offset:16768
	;; [unrolled: 1-line block ×8, first 2 shown]
	.loc	1 60 24                         ; persistent_matmul.py:60:24
	ds_load_b128 v[132:135], v136
	.loc	1 61 24                         ; persistent_matmul.py:61:24
	ds_load_u16_d16_hi v79, v128 offset:32512
	ds_load_u16_d16_hi v66, v128 offset:30080
	;; [unrolled: 1-line block ×8, first 2 shown]
	s_waitcnt lgkmcnt(37)
	ds_load_u16_d16_hi v111, v128 offset:24320
	ds_load_u16_d16_hi v80, v128 offset:24960
	;; [unrolled: 1-line block ×6, first 2 shown]
	s_waitcnt lgkmcnt(38)
	ds_load_u16_d16_hi v101, v128 offset:23424
	ds_load_u16_d16_hi v110, v128 offset:23808
	;; [unrolled: 1-line block ×3, first 2 shown]
	s_waitcnt lgkmcnt(36)
	ds_load_u16_d16_hi v96, v128 offset:20864
	s_waitcnt lgkmcnt(33)
	ds_load_u16_d16_hi v106, v128 offset:21760
	ds_load_u16_d16_hi v105, v128 offset:21248
	s_waitcnt lgkmcnt(34)
	ds_load_u16_d16_hi v118, v128 offset:19840
	ds_load_u16_d16_hi v127, v128 offset:20224
	;; [unrolled: 1-line block ×3, first 2 shown]
	s_waitcnt lgkmcnt(32)
	ds_load_u16_d16_hi v113, v128 offset:17280
	ds_load_u16_d16_hi v122, v128 offset:17664
	;; [unrolled: 1-line block ×3, first 2 shown]
	.loc	1 60 24                         ; persistent_matmul.py:60:24
	ds_load_b128 v[140:143], v136 offset:8192
	ds_load_b128 v[148:151], v136 offset:4096
	v_xad_u32 v128, v129, 48, 0
	ds_load_b128 v[172:175], v128
	ds_load_b128 v[180:183], v137 offset:4096
	ds_load_b128 v[176:179], v138 offset:4096
	;; [unrolled: 1-line block ×3, first 2 shown]
	ds_load_b128 v[168:171], v192
	ds_load_b128 v[196:199], v128 offset:8192
	ds_load_b128 v[204:207], v128 offset:4096
	;; [unrolled: 1-line block ×4, first 2 shown]
	ds_load_b128 v[160:163], v232
	ds_load_b128 v[220:223], v139 offset:4096
	ds_load_b128 v[216:219], v232 offset:4096
	;; [unrolled: 1-line block ×3, first 2 shown]
	ds_load_b128 v[128:131], v240
	ds_load_b128 v[228:231], v137 offset:12288
	ds_load_b128 v[184:187], v192 offset:12288
	;; [unrolled: 1-line block ×4, first 2 shown]
	.loc	1 62 39                         ; persistent_matmul.py:62:39
	s_waitcnt lgkmcnt(22)
	v_wmma_f32_16x16x16_f16 v[48:55], v[112:119], v[152:159], v[48:55]
	s_waitcnt lgkmcnt(20)
	v_wmma_f32_16x16x16_f16 v[56:63], v[120:127], v[152:159], v[56:63]
	.loc	1 60 24                         ; persistent_matmul.py:60:24
	ds_load_b128 v[156:159], v137 offset:8192
	ds_load_b128 v[152:155], v138 offset:8192
	;; [unrolled: 1-line block ×4, first 2 shown]
	.loc	1 62 39                         ; persistent_matmul.py:62:39
	s_waitcnt lgkmcnt(19)
	v_wmma_f32_16x16x16_f16 v[40:47], v[120:127], v[176:183], v[40:47]
	s_waitcnt lgkmcnt(17)
	v_wmma_f32_16x16x16_f16 v[48:55], v[96:103], v[168:175], v[48:55]
	v_wmma_f32_16x16x16_f16 v[32:39], v[112:119], v[176:183], v[32:39]
	v_wmma_f32_16x16x16_f16 v[56:63], v[104:111], v[168:175], v[56:63]
	.loc	1 60 24                         ; persistent_matmul.py:60:24
	ds_load_b128 v[232:235], v232 offset:8192
	ds_load_b128 v[168:171], v240 offset:12288
	;; [unrolled: 1-line block ×4, first 2 shown]
	.loc	1 62 39                         ; persistent_matmul.py:62:39
	s_waitcnt lgkmcnt(18)
	v_wmma_f32_16x16x16_f16 v[40:47], v[104:111], v[200:207], v[40:47]
	v_wmma_f32_16x16x16_f16 v[32:39], v[96:103], v[200:207], v[32:39]
	s_waitcnt lgkmcnt(16)
	v_wmma_f32_16x16x16_f16 v[56:63], v[88:95], v[160:167], v[56:63]
	v_wmma_f32_16x16x16_f16 v[48:55], v[80:87], v[160:167], v[48:55]
	;; [unrolled: 3-line block ×4, first 2 shown]
	v_dual_mov_b32 v220, v254 :: v_dual_mov_b32 v219, v253
	s_waitcnt lgkmcnt(6)
	v_wmma_f32_16x16x16_f16 v[24:31], v[120:127], v[152:159], v[24:31]
	v_wmma_f32_16x16x16_f16 v[16:23], v[112:119], v[152:159], v[16:23]
	s_waitcnt lgkmcnt(4)
	v_wmma_f32_16x16x16_f16 v[8:15], v[120:127], v[224:231], v[8:15]
	v_wmma_f32_16x16x16_f16 v[0:7], v[112:119], v[224:231], v[0:7]
	;; [unrolled: 1-line block ×7, first 2 shown]
	v_dual_mov_b32 v218, v252 :: v_dual_mov_b32 v217, v251
	s_waitcnt lgkmcnt(3)
	v_wmma_f32_16x16x16_f16 v[24:31], v[88:95], v[232:239], v[24:31]
	v_wmma_f32_16x16x16_f16 v[16:23], v[80:87], v[232:239], v[16:23]
	;; [unrolled: 1-line block ×4, first 2 shown]
	v_dual_mov_b32 v216, v250 :: v_dual_mov_b32 v195, v249
	v_dual_mov_b32 v194, v248 :: v_dual_mov_b32 v193, v247
	;; [unrolled: 1-line block ×5, first 2 shown]
	v_mov_b32_e32 v233, v255
	v_wmma_f32_16x16x16_f16 v[32:39], v[64:71], v[144:151], v[32:39]
	s_waitcnt lgkmcnt(0)
	v_wmma_f32_16x16x16_f16 v[24:31], v[72:79], v[136:143], v[24:31]
	v_wmma_f32_16x16x16_f16 v[16:23], v[64:71], v[136:143], v[16:23]
	;; [unrolled: 1-line block ×4, first 2 shown]
.LBB0_396:
	.loc	1 43 59                         ; persistent_matmul.py:43:59
	s_cmp_lg_u32 s40, s39
	s_cselect_b32 s1, -1, 0
	s_xor_b32 s2, s35, -1
	s_delay_alu instid0(SALU_CYCLE_1) | instskip(NEXT) | instid1(SALU_CYCLE_1)
	s_or_b32 s1, s2, s1
	s_and_b32 vcc_lo, exec_lo, s1
	s_cbranch_vccnz .LBB0_481
; %bb.397:
.Ltmp53:
	.loc	1 10 26                         ; persistent_matmul.py:10:26 @[ persistent_matmul.py:65:90 ]
	s_abs_i32 s1, s0
	s_ashr_i32 s3, s0, 31
	s_mul_hi_u32 s2, s1, s37
	s_xor_b32 s5, s3, s36
	s_mul_i32 s4, s2, s34
	s_add_i32 s6, s2, 1
	s_sub_i32 s4, s1, s4
	s_delay_alu instid0(SALU_CYCLE_1)
	s_sub_i32 s7, s4, s34
	s_cmp_ge_u32 s4, s34
	s_cselect_b32 s2, s6, s2
	s_cselect_b32 s4, s7, s4
	s_add_i32 s6, s2, 1
	s_cmp_ge_u32 s4, s34
	s_cselect_b32 s2, s6, s2
	s_delay_alu instid0(SALU_CYCLE_1) | instskip(NEXT) | instid1(SALU_CYCLE_1)
	s_xor_b32 s2, s2, s5
	s_sub_i32 s2, s2, s5
	s_delay_alu instid0(SALU_CYCLE_1) | instskip(SKIP_2) | instid1(SALU_CYCLE_1)
	.loc	1 11 29                         ; persistent_matmul.py:11:29 @[ persistent_matmul.py:65:90 ]
	s_lshl_b32 s4, s2, 3
	.loc	1 14 23                         ; persistent_matmul.py:14:23 @[ persistent_matmul.py:65:90 ]
	s_mul_i32 s2, s2, s33
	.loc	1 12 35                         ; persistent_matmul.py:12:35 @[ persistent_matmul.py:65:90 ]
	s_sub_i32 s5, s30, s4
	.loc	1 12 48 is_stmt 0               ; persistent_matmul.py:12:48 @[ persistent_matmul.py:65:90 ]
	s_min_i32 s5, s5, 8
	s_delay_alu instid0(SALU_CYCLE_1) | instskip(NEXT) | instid1(SALU_CYCLE_1)
	.loc	1 13 37 is_stmt 1               ; persistent_matmul.py:13:37 @[ persistent_matmul.py:65:90 ]
	s_abs_i32 s6, s5
	v_cvt_f32_u32_e32 v64, s6
	s_sub_i32 s8, 0, s6
	s_delay_alu instid0(VALU_DEP_1) | instskip(SKIP_2) | instid1(VALU_DEP_1)
	v_rcp_iflag_f32_e32 v64, v64
	s_waitcnt_depctr depctr_va_vdst(0)
	v_mul_f32_e32 v64, 0x4f7ffffe, v64
	v_cvt_u32_f32_e32 v64, v64
	s_delay_alu instid0(VALU_DEP_1) | instskip(SKIP_1) | instid1(SALU_CYCLE_1)
	v_readfirstlane_b32 s7, v64
	s_mul_i32 s8, s8, s7
	s_mul_hi_u32 s8, s7, s8
	s_delay_alu instid0(SALU_CYCLE_1) | instskip(NEXT) | instid1(SALU_CYCLE_1)
	s_add_i32 s7, s7, s8
	s_mul_hi_u32 s8, s1, s7
	s_delay_alu instid0(SALU_CYCLE_1) | instskip(NEXT) | instid1(SALU_CYCLE_1)
	s_mul_i32 s8, s8, s6
	s_sub_i32 s1, s1, s8
	s_delay_alu instid0(SALU_CYCLE_1) | instskip(SKIP_2) | instid1(SALU_CYCLE_1)
	s_sub_i32 s8, s1, s6
	s_cmp_ge_u32 s1, s6
	s_cselect_b32 s1, s8, s1
	s_sub_i32 s8, s1, s6
	s_cmp_ge_u32 s1, s6
	s_cselect_b32 s1, s8, s1
	.loc	1 14 23                         ; persistent_matmul.py:14:23 @[ persistent_matmul.py:65:90 ]
	s_sub_i32 s0, s0, s2
	.loc	1 13 37                         ; persistent_matmul.py:13:37 @[ persistent_matmul.py:65:90 ]
	s_xor_b32 s1, s1, s3
	.loc	1 14 44                         ; persistent_matmul.py:14:44 @[ persistent_matmul.py:65:90 ]
	s_xor_b32 s2, s0, s5
	s_abs_i32 s0, s0
	.loc	1 13 37                         ; persistent_matmul.py:13:37 @[ persistent_matmul.py:65:90 ]
	s_sub_i32 s1, s1, s3
	.loc	1 14 44                         ; persistent_matmul.py:14:44 @[ persistent_matmul.py:65:90 ]
	s_mul_hi_u32 s3, s0, s7
	s_ashr_i32 s2, s2, 31
	s_mul_i32 s5, s3, s6
	.loc	1 13 27                         ; persistent_matmul.py:13:27 @[ persistent_matmul.py:65:90 ]
	s_add_i32 s4, s4, s1
	.loc	1 14 44                         ; persistent_matmul.py:14:44 @[ persistent_matmul.py:65:90 ]
	s_sub_i32 s0, s0, s5
	s_add_i32 s1, s3, 1
	s_sub_i32 s5, s0, s6
	s_cmp_ge_u32 s0, s6
	s_cselect_b32 s1, s1, s3
	s_cselect_b32 s0, s5, s0
	s_add_i32 s3, s1, 1
	s_cmp_ge_u32 s0, s6
	s_cselect_b32 s0, s3, s1
.Ltmp54:
	.loc	1 66 26                         ; persistent_matmul.py:66:26
	s_lshl_b32 s24, s4, 7
.Ltmp55:
	.loc	1 14 44                         ; persistent_matmul.py:14:44 @[ persistent_matmul.py:65:90 ]
	s_xor_b32 s0, s0, s2
.Ltmp56:
	.loc	1 66 41                         ; persistent_matmul.py:66:41
	v_or_b32_e32 v67, s24, v130
.Ltmp57:
	.loc	1 14 44                         ; persistent_matmul.py:14:44 @[ persistent_matmul.py:65:90 ]
	s_sub_i32 s0, s0, s2
	s_delay_alu instid0(SALU_CYCLE_1) | instskip(NEXT) | instid1(VALU_DEP_1)
.Ltmp58:
	.loc	1 67 26                         ; persistent_matmul.py:67:26
	s_lshl_b32 s17, s0, 7
	.loc	1 68 37                         ; persistent_matmul.py:68:37
	v_mul_lo_u32 v64, v67, s18
	.loc	1 67 41                         ; persistent_matmul.py:67:41
	v_or_b32_e32 v68, s17, v131
	.loc	1 69 37                         ; persistent_matmul.py:69:37
	v_cmp_gt_i32_e64 s16, s22, v67
	s_delay_alu instid0(VALU_DEP_2) | instskip(NEXT) | instid1(VALU_DEP_4)
	.loc	1 69 62 is_stmt 0               ; persistent_matmul.py:69:62
	v_cmp_gt_i32_e32 vcc_lo, s23, v68
	.loc	1 68 25 is_stmt 1               ; persistent_matmul.py:68:25
	v_ashrrev_i32_e32 v65, 31, v64
	s_delay_alu instid0(VALU_DEP_1) | instskip(SKIP_1) | instid1(VALU_DEP_2)
	v_lshlrev_b64 v[65:66], 1, v[64:65]
	.loc	1 68 68 is_stmt 0               ; persistent_matmul.py:68:68
	v_mul_lo_u32 v64, v68, s19
	.loc	1 68 25                         ; persistent_matmul.py:68:25
	v_add_co_u32 v82, s0, s20, v65
	s_delay_alu instid0(VALU_DEP_1) | instskip(NEXT) | instid1(VALU_DEP_3)
	v_add_co_ci_u32_e64 v83, null, s21, v66, s0
	.loc	1 68 56                         ; persistent_matmul.py:68:56
	v_ashrrev_i32_e32 v65, 31, v64
	.loc	1 69 43 is_stmt 1               ; persistent_matmul.py:69:43
	s_and_b32 s0, s16, vcc_lo
	s_delay_alu instid0(SALU_CYCLE_1)
	.loc	1 74 25                         ; persistent_matmul.py:74:25
	s_and_saveexec_b32 s1, s0
	s_cbranch_execz .LBB0_399
; %bb.398:
	.loc	1 0 25 is_stmt 0                ; persistent_matmul.py:0:25
	s_delay_alu instid0(VALU_DEP_1) | instskip(SKIP_1) | instid1(VALU_DEP_2)
	v_lshlrev_b64 v[66:67], 1, v[64:65]
	v_cvt_f16_f32_e32 v56, v56
	v_add_co_u32 v66, s0, v82, v66
	s_delay_alu instid0(VALU_DEP_1)
	v_add_co_ci_u32_e64 v67, null, v83, v67, s0
	.loc	1 74 25                         ; persistent_matmul.py:74:25
	global_store_b16 v[66:67], v56, off
.LBB0_399:
	.loc	1 0 25                          ; persistent_matmul.py:0:25
	s_or_b32 exec_lo, exec_lo, s1
	.loc	1 67 41 is_stmt 1               ; persistent_matmul.py:67:41
	v_or_b32_e32 v56, s17, v187
	s_delay_alu instid0(VALU_DEP_1)
	.loc	1 68 68                         ; persistent_matmul.py:68:68
	v_mul_lo_u32 v66, v56, s19
	.loc	1 69 62                         ; persistent_matmul.py:69:62
	v_cmp_gt_i32_e64 s0, s23, v56
	.loc	1 69 43 is_stmt 0               ; persistent_matmul.py:69:43
	s_and_b32 s1, s16, s0
	.loc	1 68 56 is_stmt 1               ; persistent_matmul.py:68:56
	v_ashrrev_i32_e32 v67, 31, v66
	.loc	1 74 25                         ; persistent_matmul.py:74:25
	s_and_saveexec_b32 s2, s1
	s_cbranch_execz .LBB0_401
; %bb.400:
	.loc	1 0 25 is_stmt 0                ; persistent_matmul.py:0:25
	s_delay_alu instid0(VALU_DEP_1) | instskip(SKIP_1) | instid1(VALU_DEP_2)
	.loc	1 68 56 is_stmt 1               ; persistent_matmul.py:68:56
	v_lshlrev_b64 v[68:69], 1, v[66:67]
	.loc	1 73 31                         ; persistent_matmul.py:73:31
	v_cvt_f16_f32_e32 v56, v57
	.loc	1 68 56                         ; persistent_matmul.py:68:56
	v_add_co_u32 v68, s1, v82, v68
	s_delay_alu instid0(VALU_DEP_1)
	v_add_co_ci_u32_e64 v69, null, v83, v69, s1
	.loc	1 74 25                         ; persistent_matmul.py:74:25
	global_store_b16 v[68:69], v56, off
.LBB0_401:
	.loc	1 0 25 is_stmt 0                ; persistent_matmul.py:0:25
	s_or_b32 exec_lo, exec_lo, s2
	.loc	1 67 41 is_stmt 1               ; persistent_matmul.py:67:41
	v_or_b32_e32 v57, s17, v193
	s_delay_alu instid0(VALU_DEP_1)
	.loc	1 68 68                         ; persistent_matmul.py:68:68
	v_mul_lo_u32 v56, v57, s19
	.loc	1 69 62                         ; persistent_matmul.py:69:62
	v_cmp_gt_i32_e64 s1, s23, v57
	.loc	1 69 43 is_stmt 0               ; persistent_matmul.py:69:43
	s_and_b32 s2, s16, s1
	.loc	1 68 56 is_stmt 1               ; persistent_matmul.py:68:56
	v_ashrrev_i32_e32 v57, 31, v56
	.loc	1 74 25                         ; persistent_matmul.py:74:25
	s_and_saveexec_b32 s3, s2
	s_cbranch_execz .LBB0_403
; %bb.402:
	.loc	1 0 25 is_stmt 0                ; persistent_matmul.py:0:25
	s_delay_alu instid0(VALU_DEP_1) | instskip(SKIP_1) | instid1(VALU_DEP_2)
	.loc	1 68 56 is_stmt 1               ; persistent_matmul.py:68:56
	v_lshlrev_b64 v[68:69], 1, v[56:57]
	.loc	1 73 31                         ; persistent_matmul.py:73:31
	v_cvt_f16_f32_e32 v58, v58
	.loc	1 68 56                         ; persistent_matmul.py:68:56
	v_add_co_u32 v68, s2, v82, v68
	s_delay_alu instid0(VALU_DEP_1)
	v_add_co_ci_u32_e64 v69, null, v83, v69, s2
	.loc	1 74 25                         ; persistent_matmul.py:74:25
	global_store_b16 v[68:69], v58, off
.LBB0_403:
	.loc	1 0 25 is_stmt 0                ; persistent_matmul.py:0:25
	;; [unrolled: 30-line block ×10, first 2 shown]
	s_or_b32 exec_lo, exec_lo, s11
	.loc	1 67 41 is_stmt 1               ; persistent_matmul.py:67:41
	scratch_load_b32 v50, off, off offset:280 ; 4-byte Folded Reload
	s_waitcnt vmcnt(0)
	v_or_b32_e32 v50, s17, v50
	s_delay_alu instid0(VALU_DEP_1)
	.loc	1 68 68                         ; persistent_matmul.py:68:68
	v_mul_lo_u32 v76, v50, s19
	.loc	1 69 62                         ; persistent_matmul.py:69:62
	v_cmp_gt_i32_e64 s10, s23, v50
	.loc	1 69 43 is_stmt 0               ; persistent_matmul.py:69:43
	s_and_b32 s11, s16, s10
	.loc	1 68 56 is_stmt 1               ; persistent_matmul.py:68:56
	v_ashrrev_i32_e32 v77, 31, v76
	.loc	1 74 25                         ; persistent_matmul.py:74:25
	s_and_saveexec_b32 s12, s11
	s_cbranch_execz .LBB0_421
; %bb.420:
	.loc	1 0 25 is_stmt 0                ; persistent_matmul.py:0:25
	s_delay_alu instid0(VALU_DEP_1) | instskip(SKIP_1) | instid1(VALU_DEP_2)
	.loc	1 68 56 is_stmt 1               ; persistent_matmul.py:68:56
	v_lshlrev_b64 v[78:79], 1, v[76:77]
	.loc	1 73 31                         ; persistent_matmul.py:73:31
	v_cvt_f16_f32_e32 v50, v51
	.loc	1 68 56                         ; persistent_matmul.py:68:56
	v_add_co_u32 v78, s11, v82, v78
	s_delay_alu instid0(VALU_DEP_1)
	v_add_co_ci_u32_e64 v79, null, v83, v79, s11
	.loc	1 74 25                         ; persistent_matmul.py:74:25
	global_store_b16 v[78:79], v50, off
.LBB0_421:
	.loc	1 0 25 is_stmt 0                ; persistent_matmul.py:0:25
	s_or_b32 exec_lo, exec_lo, s12
	.loc	1 67 41 is_stmt 1               ; persistent_matmul.py:67:41
	scratch_load_b32 v50, off, off offset:284 ; 4-byte Folded Reload
	s_waitcnt vmcnt(0)
	v_or_b32_e32 v51, s17, v50
	s_delay_alu instid0(VALU_DEP_1)
	.loc	1 68 68                         ; persistent_matmul.py:68:68
	v_mul_lo_u32 v50, v51, s19
	.loc	1 69 62                         ; persistent_matmul.py:69:62
	v_cmp_gt_i32_e64 s11, s23, v51
	.loc	1 69 43 is_stmt 0               ; persistent_matmul.py:69:43
	s_and_b32 s12, s16, s11
	.loc	1 68 56 is_stmt 1               ; persistent_matmul.py:68:56
	v_ashrrev_i32_e32 v51, 31, v50
	.loc	1 74 25                         ; persistent_matmul.py:74:25
	s_and_saveexec_b32 s13, s12
	s_cbranch_execz .LBB0_423
; %bb.422:
	.loc	1 0 25 is_stmt 0                ; persistent_matmul.py:0:25
	s_delay_alu instid0(VALU_DEP_1) | instskip(SKIP_1) | instid1(VALU_DEP_2)
	.loc	1 68 56 is_stmt 1               ; persistent_matmul.py:68:56
	v_lshlrev_b64 v[78:79], 1, v[50:51]
	.loc	1 73 31                         ; persistent_matmul.py:73:31
	v_cvt_f16_f32_e32 v52, v52
	.loc	1 68 56                         ; persistent_matmul.py:68:56
	v_add_co_u32 v78, s12, v82, v78
	s_delay_alu instid0(VALU_DEP_1)
	v_add_co_ci_u32_e64 v79, null, v83, v79, s12
	.loc	1 74 25                         ; persistent_matmul.py:74:25
	global_store_b16 v[78:79], v52, off
.LBB0_423:
	.loc	1 0 25 is_stmt 0                ; persistent_matmul.py:0:25
	;; [unrolled: 32-line block ×5, first 2 shown]
	s_or_b32 exec_lo, exec_lo, s17
	.loc	1 66 41 is_stmt 1               ; persistent_matmul.py:66:41
	v_or_b32_e32 v82, s24, v184
	s_delay_alu instid0(VALU_DEP_1) | instskip(SKIP_1) | instid1(VALU_DEP_2)
	.loc	1 68 37                         ; persistent_matmul.py:68:37
	v_mul_lo_u32 v54, v82, s18
	.loc	1 69 37                         ; persistent_matmul.py:69:37
	v_cmp_gt_i32_e64 s16, s22, v82
	.loc	1 68 25                         ; persistent_matmul.py:68:25
	v_ashrrev_i32_e32 v55, 31, v54
	s_delay_alu instid0(VALU_DEP_1) | instskip(NEXT) | instid1(VALU_DEP_1)
	v_lshlrev_b64 v[54:55], 1, v[54:55]
	v_add_co_u32 v54, s17, s20, v54
	s_delay_alu instid0(VALU_DEP_1) | instskip(SKIP_1) | instid1(SALU_CYCLE_1)
	v_add_co_ci_u32_e64 v55, null, s21, v55, s17
	.loc	1 69 43                         ; persistent_matmul.py:69:43
	s_and_b32 s17, s16, vcc_lo
	.loc	1 74 25                         ; persistent_matmul.py:74:25
	s_and_saveexec_b32 s25, s17
	s_cbranch_execnz .LBB0_615
; %bb.430:
	.loc	1 0 25 is_stmt 0                ; persistent_matmul.py:0:25
	s_or_b32 exec_lo, exec_lo, s25
	.loc	1 69 43 is_stmt 1               ; persistent_matmul.py:69:43
	s_and_b32 s17, s16, s0
	s_delay_alu instid0(SALU_CYCLE_1)
	.loc	1 74 25                         ; persistent_matmul.py:74:25
	s_and_saveexec_b32 s25, s17
	s_cbranch_execnz .LBB0_616
.LBB0_431:
	.loc	1 0 25 is_stmt 0                ; persistent_matmul.py:0:25
	s_or_b32 exec_lo, exec_lo, s25
	.loc	1 69 43 is_stmt 1               ; persistent_matmul.py:69:43
	s_and_b32 s17, s16, s1
	s_delay_alu instid0(SALU_CYCLE_1)
	.loc	1 74 25                         ; persistent_matmul.py:74:25
	s_and_saveexec_b32 s25, s17
	s_cbranch_execnz .LBB0_617
.LBB0_432:
	.loc	1 0 25 is_stmt 0                ; persistent_matmul.py:0:25
	s_or_b32 exec_lo, exec_lo, s25
	.loc	1 69 43 is_stmt 1               ; persistent_matmul.py:69:43
	s_and_b32 s17, s16, s2
	s_delay_alu instid0(SALU_CYCLE_1)
	.loc	1 74 25                         ; persistent_matmul.py:74:25
	s_and_saveexec_b32 s25, s17
	s_cbranch_execnz .LBB0_618
.LBB0_433:
	.loc	1 0 25 is_stmt 0                ; persistent_matmul.py:0:25
	s_or_b32 exec_lo, exec_lo, s25
	.loc	1 69 43 is_stmt 1               ; persistent_matmul.py:69:43
	s_and_b32 s17, s16, s3
	s_delay_alu instid0(SALU_CYCLE_1)
	.loc	1 74 25                         ; persistent_matmul.py:74:25
	s_and_saveexec_b32 s25, s17
	s_cbranch_execnz .LBB0_619
.LBB0_434:
	.loc	1 0 25 is_stmt 0                ; persistent_matmul.py:0:25
	s_or_b32 exec_lo, exec_lo, s25
	.loc	1 69 43 is_stmt 1               ; persistent_matmul.py:69:43
	s_and_b32 s17, s16, s4
	s_delay_alu instid0(SALU_CYCLE_1)
	.loc	1 74 25                         ; persistent_matmul.py:74:25
	s_and_saveexec_b32 s25, s17
	s_cbranch_execnz .LBB0_620
.LBB0_435:
	.loc	1 0 25 is_stmt 0                ; persistent_matmul.py:0:25
	s_or_b32 exec_lo, exec_lo, s25
	.loc	1 69 43 is_stmt 1               ; persistent_matmul.py:69:43
	s_and_b32 s17, s16, s5
	s_delay_alu instid0(SALU_CYCLE_1)
	.loc	1 74 25                         ; persistent_matmul.py:74:25
	s_and_saveexec_b32 s25, s17
	s_cbranch_execnz .LBB0_621
.LBB0_436:
	.loc	1 0 25 is_stmt 0                ; persistent_matmul.py:0:25
	s_or_b32 exec_lo, exec_lo, s25
	.loc	1 69 43 is_stmt 1               ; persistent_matmul.py:69:43
	s_and_b32 s17, s16, s6
	s_delay_alu instid0(SALU_CYCLE_1)
	.loc	1 74 25                         ; persistent_matmul.py:74:25
	s_and_saveexec_b32 s25, s17
	s_cbranch_execnz .LBB0_622
.LBB0_437:
	.loc	1 0 25 is_stmt 0                ; persistent_matmul.py:0:25
	s_or_b32 exec_lo, exec_lo, s25
	.loc	1 69 43 is_stmt 1               ; persistent_matmul.py:69:43
	s_and_b32 s17, s16, s7
	s_delay_alu instid0(SALU_CYCLE_1)
	.loc	1 74 25                         ; persistent_matmul.py:74:25
	s_and_saveexec_b32 s25, s17
	s_cbranch_execnz .LBB0_623
.LBB0_438:
	.loc	1 0 25 is_stmt 0                ; persistent_matmul.py:0:25
	s_or_b32 exec_lo, exec_lo, s25
	.loc	1 69 43 is_stmt 1               ; persistent_matmul.py:69:43
	s_and_b32 s17, s16, s8
	s_delay_alu instid0(SALU_CYCLE_1)
	.loc	1 74 25                         ; persistent_matmul.py:74:25
	s_and_saveexec_b32 s25, s17
	s_cbranch_execnz .LBB0_624
.LBB0_439:
	.loc	1 0 25 is_stmt 0                ; persistent_matmul.py:0:25
	s_or_b32 exec_lo, exec_lo, s25
	.loc	1 69 43 is_stmt 1               ; persistent_matmul.py:69:43
	s_and_b32 s17, s16, s9
	s_delay_alu instid0(SALU_CYCLE_1)
	.loc	1 74 25                         ; persistent_matmul.py:74:25
	s_and_saveexec_b32 s25, s17
	s_cbranch_execnz .LBB0_625
.LBB0_440:
	.loc	1 0 25 is_stmt 0                ; persistent_matmul.py:0:25
	s_or_b32 exec_lo, exec_lo, s25
	.loc	1 69 43 is_stmt 1               ; persistent_matmul.py:69:43
	s_and_b32 s17, s16, s10
	s_delay_alu instid0(SALU_CYCLE_1)
	.loc	1 74 25                         ; persistent_matmul.py:74:25
	s_and_saveexec_b32 s25, s17
	s_cbranch_execnz .LBB0_626
.LBB0_441:
	.loc	1 0 25 is_stmt 0                ; persistent_matmul.py:0:25
	s_or_b32 exec_lo, exec_lo, s25
	.loc	1 69 43 is_stmt 1               ; persistent_matmul.py:69:43
	s_and_b32 s17, s16, s11
	s_delay_alu instid0(SALU_CYCLE_1)
	.loc	1 74 25                         ; persistent_matmul.py:74:25
	s_and_saveexec_b32 s25, s17
	s_cbranch_execnz .LBB0_627
.LBB0_442:
	.loc	1 0 25 is_stmt 0                ; persistent_matmul.py:0:25
	s_or_b32 exec_lo, exec_lo, s25
	.loc	1 69 43 is_stmt 1               ; persistent_matmul.py:69:43
	s_and_b32 s17, s16, s12
	s_delay_alu instid0(SALU_CYCLE_1)
	.loc	1 74 25                         ; persistent_matmul.py:74:25
	s_and_saveexec_b32 s25, s17
	s_cbranch_execnz .LBB0_628
.LBB0_443:
	.loc	1 0 25 is_stmt 0                ; persistent_matmul.py:0:25
	s_or_b32 exec_lo, exec_lo, s25
	.loc	1 69 43 is_stmt 1               ; persistent_matmul.py:69:43
	s_and_b32 s17, s16, s13
	s_delay_alu instid0(SALU_CYCLE_1)
	.loc	1 74 25                         ; persistent_matmul.py:74:25
	s_and_saveexec_b32 s25, s17
	s_cbranch_execnz .LBB0_629
.LBB0_444:
	.loc	1 0 25 is_stmt 0                ; persistent_matmul.py:0:25
	s_or_b32 exec_lo, exec_lo, s25
	.loc	1 69 43 is_stmt 1               ; persistent_matmul.py:69:43
	s_and_b32 s16, s16, s14
	s_delay_alu instid0(SALU_CYCLE_1)
	.loc	1 74 25                         ; persistent_matmul.py:74:25
	s_and_saveexec_b32 s17, s16
	s_cbranch_execz .LBB0_446
.LBB0_445:
	.loc	1 68 56                         ; persistent_matmul.py:68:56
	v_lshlrev_b64 v[32:33], 1, v[80:81]
	.loc	1 73 31                         ; persistent_matmul.py:73:31
	v_cvt_f16_f32_e32 v34, v39
	s_delay_alu instid0(VALU_DEP_2) | instskip(NEXT) | instid1(VALU_DEP_1)
	.loc	1 68 56                         ; persistent_matmul.py:68:56
	v_add_co_u32 v32, s16, v54, v32
	v_add_co_ci_u32_e64 v33, null, v55, v33, s16
	.loc	1 74 25                         ; persistent_matmul.py:74:25
	global_store_b16 v[32:33], v34, off
.LBB0_446:
	.loc	1 0 25 is_stmt 0                ; persistent_matmul.py:0:25
	s_or_b32 exec_lo, exec_lo, s17
	.loc	1 66 41 is_stmt 1               ; persistent_matmul.py:66:41
	v_or_b32_e32 v34, s24, v185
	s_delay_alu instid0(VALU_DEP_1) | instskip(SKIP_1) | instid1(VALU_DEP_2)
	.loc	1 68 37                         ; persistent_matmul.py:68:37
	v_mul_lo_u32 v32, v34, s18
	.loc	1 69 37                         ; persistent_matmul.py:69:37
	v_cmp_gt_i32_e64 s16, s22, v34
	.loc	1 68 25                         ; persistent_matmul.py:68:25
	v_ashrrev_i32_e32 v33, 31, v32
	s_delay_alu instid0(VALU_DEP_1) | instskip(NEXT) | instid1(VALU_DEP_1)
	v_lshlrev_b64 v[32:33], 1, v[32:33]
	v_add_co_u32 v32, s17, s20, v32
	s_delay_alu instid0(VALU_DEP_1) | instskip(SKIP_1) | instid1(SALU_CYCLE_1)
	v_add_co_ci_u32_e64 v33, null, s21, v33, s17
	.loc	1 69 43                         ; persistent_matmul.py:69:43
	s_and_b32 s17, s16, vcc_lo
	.loc	1 74 25                         ; persistent_matmul.py:74:25
	s_and_saveexec_b32 s25, s17
	s_cbranch_execnz .LBB0_630
; %bb.447:
	.loc	1 0 25 is_stmt 0                ; persistent_matmul.py:0:25
	s_or_b32 exec_lo, exec_lo, s25
	.loc	1 69 43 is_stmt 1               ; persistent_matmul.py:69:43
	s_and_b32 s17, s16, s0
	s_delay_alu instid0(SALU_CYCLE_1)
	.loc	1 74 25                         ; persistent_matmul.py:74:25
	s_and_saveexec_b32 s25, s17
	s_cbranch_execnz .LBB0_631
.LBB0_448:
	.loc	1 0 25 is_stmt 0                ; persistent_matmul.py:0:25
	s_or_b32 exec_lo, exec_lo, s25
	.loc	1 69 43 is_stmt 1               ; persistent_matmul.py:69:43
	s_and_b32 s17, s16, s1
	s_delay_alu instid0(SALU_CYCLE_1)
	.loc	1 74 25                         ; persistent_matmul.py:74:25
	s_and_saveexec_b32 s25, s17
	s_cbranch_execnz .LBB0_632
.LBB0_449:
	.loc	1 0 25 is_stmt 0                ; persistent_matmul.py:0:25
	s_or_b32 exec_lo, exec_lo, s25
	.loc	1 69 43 is_stmt 1               ; persistent_matmul.py:69:43
	s_and_b32 s17, s16, s2
	s_delay_alu instid0(SALU_CYCLE_1)
	.loc	1 74 25                         ; persistent_matmul.py:74:25
	s_and_saveexec_b32 s25, s17
	s_cbranch_execnz .LBB0_633
.LBB0_450:
	.loc	1 0 25 is_stmt 0                ; persistent_matmul.py:0:25
	s_or_b32 exec_lo, exec_lo, s25
	.loc	1 69 43 is_stmt 1               ; persistent_matmul.py:69:43
	s_and_b32 s17, s16, s3
	s_delay_alu instid0(SALU_CYCLE_1)
	.loc	1 74 25                         ; persistent_matmul.py:74:25
	s_and_saveexec_b32 s25, s17
	s_cbranch_execnz .LBB0_634
.LBB0_451:
	.loc	1 0 25 is_stmt 0                ; persistent_matmul.py:0:25
	s_or_b32 exec_lo, exec_lo, s25
	.loc	1 69 43 is_stmt 1               ; persistent_matmul.py:69:43
	s_and_b32 s17, s16, s4
	s_delay_alu instid0(SALU_CYCLE_1)
	.loc	1 74 25                         ; persistent_matmul.py:74:25
	s_and_saveexec_b32 s25, s17
	s_cbranch_execnz .LBB0_635
.LBB0_452:
	.loc	1 0 25 is_stmt 0                ; persistent_matmul.py:0:25
	s_or_b32 exec_lo, exec_lo, s25
	.loc	1 69 43 is_stmt 1               ; persistent_matmul.py:69:43
	s_and_b32 s17, s16, s5
	s_delay_alu instid0(SALU_CYCLE_1)
	.loc	1 74 25                         ; persistent_matmul.py:74:25
	s_and_saveexec_b32 s25, s17
	s_cbranch_execnz .LBB0_636
.LBB0_453:
	.loc	1 0 25 is_stmt 0                ; persistent_matmul.py:0:25
	s_or_b32 exec_lo, exec_lo, s25
	.loc	1 69 43 is_stmt 1               ; persistent_matmul.py:69:43
	s_and_b32 s17, s16, s6
	s_delay_alu instid0(SALU_CYCLE_1)
	.loc	1 74 25                         ; persistent_matmul.py:74:25
	s_and_saveexec_b32 s25, s17
	s_cbranch_execnz .LBB0_637
.LBB0_454:
	.loc	1 0 25 is_stmt 0                ; persistent_matmul.py:0:25
	s_or_b32 exec_lo, exec_lo, s25
	.loc	1 69 43 is_stmt 1               ; persistent_matmul.py:69:43
	s_and_b32 s17, s16, s7
	s_delay_alu instid0(SALU_CYCLE_1)
	.loc	1 74 25                         ; persistent_matmul.py:74:25
	s_and_saveexec_b32 s25, s17
	s_cbranch_execnz .LBB0_638
.LBB0_455:
	.loc	1 0 25 is_stmt 0                ; persistent_matmul.py:0:25
	s_or_b32 exec_lo, exec_lo, s25
	.loc	1 69 43 is_stmt 1               ; persistent_matmul.py:69:43
	s_and_b32 s17, s16, s8
	s_delay_alu instid0(SALU_CYCLE_1)
	.loc	1 74 25                         ; persistent_matmul.py:74:25
	s_and_saveexec_b32 s25, s17
	s_cbranch_execnz .LBB0_639
.LBB0_456:
	.loc	1 0 25 is_stmt 0                ; persistent_matmul.py:0:25
	s_or_b32 exec_lo, exec_lo, s25
	.loc	1 69 43 is_stmt 1               ; persistent_matmul.py:69:43
	s_and_b32 s17, s16, s9
	s_delay_alu instid0(SALU_CYCLE_1)
	.loc	1 74 25                         ; persistent_matmul.py:74:25
	s_and_saveexec_b32 s25, s17
	s_cbranch_execnz .LBB0_640
.LBB0_457:
	.loc	1 0 25 is_stmt 0                ; persistent_matmul.py:0:25
	s_or_b32 exec_lo, exec_lo, s25
	.loc	1 69 43 is_stmt 1               ; persistent_matmul.py:69:43
	s_and_b32 s17, s16, s10
	s_delay_alu instid0(SALU_CYCLE_1)
	.loc	1 74 25                         ; persistent_matmul.py:74:25
	s_and_saveexec_b32 s25, s17
	s_cbranch_execnz .LBB0_641
.LBB0_458:
	.loc	1 0 25 is_stmt 0                ; persistent_matmul.py:0:25
	s_or_b32 exec_lo, exec_lo, s25
	.loc	1 69 43 is_stmt 1               ; persistent_matmul.py:69:43
	s_and_b32 s17, s16, s11
	s_delay_alu instid0(SALU_CYCLE_1)
	.loc	1 74 25                         ; persistent_matmul.py:74:25
	s_and_saveexec_b32 s25, s17
	s_cbranch_execnz .LBB0_642
.LBB0_459:
	.loc	1 0 25 is_stmt 0                ; persistent_matmul.py:0:25
	s_or_b32 exec_lo, exec_lo, s25
	.loc	1 69 43 is_stmt 1               ; persistent_matmul.py:69:43
	s_and_b32 s17, s16, s12
	s_delay_alu instid0(SALU_CYCLE_1)
	.loc	1 74 25                         ; persistent_matmul.py:74:25
	s_and_saveexec_b32 s25, s17
	s_cbranch_execnz .LBB0_643
.LBB0_460:
	.loc	1 0 25 is_stmt 0                ; persistent_matmul.py:0:25
	s_or_b32 exec_lo, exec_lo, s25
	.loc	1 69 43 is_stmt 1               ; persistent_matmul.py:69:43
	s_and_b32 s17, s16, s13
	s_delay_alu instid0(SALU_CYCLE_1)
	.loc	1 74 25                         ; persistent_matmul.py:74:25
	s_and_saveexec_b32 s25, s17
	s_cbranch_execnz .LBB0_644
.LBB0_461:
	.loc	1 0 25 is_stmt 0                ; persistent_matmul.py:0:25
	s_or_b32 exec_lo, exec_lo, s25
	.loc	1 69 43 is_stmt 1               ; persistent_matmul.py:69:43
	s_and_b32 s16, s16, s14
	s_delay_alu instid0(SALU_CYCLE_1)
	.loc	1 74 25                         ; persistent_matmul.py:74:25
	s_and_saveexec_b32 s17, s16
	s_cbranch_execz .LBB0_463
.LBB0_462:
	.loc	1 68 56                         ; persistent_matmul.py:68:56
	v_lshlrev_b64 v[16:17], 1, v[80:81]
	.loc	1 73 31                         ; persistent_matmul.py:73:31
	v_cvt_f16_f32_e32 v18, v23
	s_delay_alu instid0(VALU_DEP_2) | instskip(NEXT) | instid1(VALU_DEP_1)
	.loc	1 68 56                         ; persistent_matmul.py:68:56
	v_add_co_u32 v16, s16, v32, v16
	v_add_co_ci_u32_e64 v17, null, v33, v17, s16
	.loc	1 74 25                         ; persistent_matmul.py:74:25
	global_store_b16 v[16:17], v18, off
.LBB0_463:
	.loc	1 0 25 is_stmt 0                ; persistent_matmul.py:0:25
	s_or_b32 exec_lo, exec_lo, s17
	.loc	1 66 41 is_stmt 1               ; persistent_matmul.py:66:41
	v_or_b32_e32 v18, s24, v186
	s_delay_alu instid0(VALU_DEP_1) | instskip(SKIP_3) | instid1(VALU_DEP_1)
	.loc	1 68 37                         ; persistent_matmul.py:68:37
	v_mul_lo_u32 v16, v18, s18
	.loc	1 69 37                         ; persistent_matmul.py:69:37
	v_cmp_gt_i32_e64 s16, s22, v18
	.loc	1 69 43 is_stmt 0               ; persistent_matmul.py:69:43
	s_and_b32 s24, s16, vcc_lo
	.loc	1 68 25 is_stmt 1               ; persistent_matmul.py:68:25
	v_ashrrev_i32_e32 v17, 31, v16
	v_lshlrev_b64 v[16:17], 1, v[16:17]
	s_delay_alu instid0(VALU_DEP_1) | instskip(NEXT) | instid1(VALU_DEP_1)
	v_add_co_u32 v16, s17, s20, v16
	v_add_co_ci_u32_e64 v17, null, s21, v17, s17
	.loc	1 74 25                         ; persistent_matmul.py:74:25
	s_and_saveexec_b32 s17, s24
	s_cbranch_execnz .LBB0_645
; %bb.464:
	.loc	1 0 25 is_stmt 0                ; persistent_matmul.py:0:25
	s_or_b32 exec_lo, exec_lo, s17
	.loc	1 69 43 is_stmt 1               ; persistent_matmul.py:69:43
	s_and_b32 s17, s16, s0
	s_delay_alu instid0(SALU_CYCLE_1)
	.loc	1 74 25                         ; persistent_matmul.py:74:25
	s_and_saveexec_b32 s0, s17
	s_cbranch_execnz .LBB0_646
.LBB0_465:
	.loc	1 0 25 is_stmt 0                ; persistent_matmul.py:0:25
	s_or_b32 exec_lo, exec_lo, s0
	.loc	1 69 43 is_stmt 1               ; persistent_matmul.py:69:43
	s_and_b32 s1, s16, s1
	s_delay_alu instid0(SALU_CYCLE_1)
	.loc	1 74 25                         ; persistent_matmul.py:74:25
	s_and_saveexec_b32 s0, s1
	s_cbranch_execnz .LBB0_647
.LBB0_466:
	.loc	1 0 25 is_stmt 0                ; persistent_matmul.py:0:25
	s_or_b32 exec_lo, exec_lo, s0
	.loc	1 69 43 is_stmt 1               ; persistent_matmul.py:69:43
	s_and_b32 s1, s16, s2
	s_delay_alu instid0(SALU_CYCLE_1)
	.loc	1 74 25                         ; persistent_matmul.py:74:25
	s_and_saveexec_b32 s0, s1
	s_cbranch_execnz .LBB0_648
.LBB0_467:
	.loc	1 0 25 is_stmt 0                ; persistent_matmul.py:0:25
	s_or_b32 exec_lo, exec_lo, s0
	.loc	1 69 43 is_stmt 1               ; persistent_matmul.py:69:43
	s_and_b32 s1, s16, s3
	s_delay_alu instid0(SALU_CYCLE_1)
	.loc	1 74 25                         ; persistent_matmul.py:74:25
	s_and_saveexec_b32 s0, s1
	s_cbranch_execnz .LBB0_649
.LBB0_468:
	.loc	1 0 25 is_stmt 0                ; persistent_matmul.py:0:25
	s_or_b32 exec_lo, exec_lo, s0
	.loc	1 69 43 is_stmt 1               ; persistent_matmul.py:69:43
	s_and_b32 s1, s16, s4
	s_delay_alu instid0(SALU_CYCLE_1)
	.loc	1 74 25                         ; persistent_matmul.py:74:25
	s_and_saveexec_b32 s0, s1
	s_cbranch_execnz .LBB0_650
.LBB0_469:
	.loc	1 0 25 is_stmt 0                ; persistent_matmul.py:0:25
	s_or_b32 exec_lo, exec_lo, s0
	.loc	1 69 43 is_stmt 1               ; persistent_matmul.py:69:43
	s_and_b32 s1, s16, s5
	s_delay_alu instid0(SALU_CYCLE_1)
	.loc	1 74 25                         ; persistent_matmul.py:74:25
	s_and_saveexec_b32 s0, s1
	s_cbranch_execnz .LBB0_651
.LBB0_470:
	.loc	1 0 25 is_stmt 0                ; persistent_matmul.py:0:25
	s_or_b32 exec_lo, exec_lo, s0
	.loc	1 69 43 is_stmt 1               ; persistent_matmul.py:69:43
	s_and_b32 s1, s16, s6
	s_delay_alu instid0(SALU_CYCLE_1)
	.loc	1 74 25                         ; persistent_matmul.py:74:25
	s_and_saveexec_b32 s0, s1
	s_cbranch_execnz .LBB0_652
.LBB0_471:
	.loc	1 0 25 is_stmt 0                ; persistent_matmul.py:0:25
	s_or_b32 exec_lo, exec_lo, s0
	.loc	1 69 43 is_stmt 1               ; persistent_matmul.py:69:43
	s_and_b32 s1, s16, s7
	s_delay_alu instid0(SALU_CYCLE_1)
	.loc	1 74 25                         ; persistent_matmul.py:74:25
	s_and_saveexec_b32 s0, s1
	s_cbranch_execnz .LBB0_653
.LBB0_472:
	.loc	1 0 25 is_stmt 0                ; persistent_matmul.py:0:25
	s_or_b32 exec_lo, exec_lo, s0
	.loc	1 69 43 is_stmt 1               ; persistent_matmul.py:69:43
	s_and_b32 s1, s16, s8
	s_delay_alu instid0(SALU_CYCLE_1)
	.loc	1 74 25                         ; persistent_matmul.py:74:25
	s_and_saveexec_b32 s0, s1
	s_cbranch_execnz .LBB0_654
.LBB0_473:
	.loc	1 0 25 is_stmt 0                ; persistent_matmul.py:0:25
	s_or_b32 exec_lo, exec_lo, s0
	.loc	1 69 43 is_stmt 1               ; persistent_matmul.py:69:43
	s_and_b32 s1, s16, s9
	s_delay_alu instid0(SALU_CYCLE_1)
	.loc	1 74 25                         ; persistent_matmul.py:74:25
	s_and_saveexec_b32 s0, s1
	s_cbranch_execnz .LBB0_655
.LBB0_474:
	.loc	1 0 25 is_stmt 0                ; persistent_matmul.py:0:25
	s_or_b32 exec_lo, exec_lo, s0
	.loc	1 69 43 is_stmt 1               ; persistent_matmul.py:69:43
	s_and_b32 s1, s16, s10
	s_delay_alu instid0(SALU_CYCLE_1)
	.loc	1 74 25                         ; persistent_matmul.py:74:25
	s_and_saveexec_b32 s0, s1
	s_cbranch_execnz .LBB0_656
.LBB0_475:
	.loc	1 0 25 is_stmt 0                ; persistent_matmul.py:0:25
	s_or_b32 exec_lo, exec_lo, s0
	.loc	1 69 43 is_stmt 1               ; persistent_matmul.py:69:43
	s_and_b32 s1, s16, s11
	s_delay_alu instid0(SALU_CYCLE_1)
	.loc	1 74 25                         ; persistent_matmul.py:74:25
	s_and_saveexec_b32 s0, s1
	s_cbranch_execnz .LBB0_657
.LBB0_476:
	.loc	1 0 25 is_stmt 0                ; persistent_matmul.py:0:25
	s_or_b32 exec_lo, exec_lo, s0
	.loc	1 69 43 is_stmt 1               ; persistent_matmul.py:69:43
	s_and_b32 s1, s16, s12
	s_delay_alu instid0(SALU_CYCLE_1)
	.loc	1 74 25                         ; persistent_matmul.py:74:25
	s_and_saveexec_b32 s0, s1
	s_cbranch_execnz .LBB0_658
.LBB0_477:
	.loc	1 0 25 is_stmt 0                ; persistent_matmul.py:0:25
	s_or_b32 exec_lo, exec_lo, s0
	.loc	1 69 43 is_stmt 1               ; persistent_matmul.py:69:43
	s_and_b32 s1, s16, s13
	s_delay_alu instid0(SALU_CYCLE_1)
	.loc	1 74 25                         ; persistent_matmul.py:74:25
	s_and_saveexec_b32 s0, s1
	s_cbranch_execnz .LBB0_659
.LBB0_478:
	.loc	1 0 25 is_stmt 0                ; persistent_matmul.py:0:25
	s_or_b32 exec_lo, exec_lo, s0
	.loc	1 69 43 is_stmt 1               ; persistent_matmul.py:69:43
	s_and_b32 s1, s16, s14
	s_delay_alu instid0(SALU_CYCLE_1)
	.loc	1 74 25                         ; persistent_matmul.py:74:25
	s_and_saveexec_b32 s0, s1
	s_cbranch_execz .LBB0_480
.LBB0_479:
	.loc	1 68 56                         ; persistent_matmul.py:68:56
	v_lshlrev_b64 v[0:1], 1, v[80:81]
	.loc	1 73 31                         ; persistent_matmul.py:73:31
	v_cvt_f16_f32_e32 v2, v7
	s_delay_alu instid0(VALU_DEP_2) | instskip(NEXT) | instid1(VALU_DEP_1)
	.loc	1 68 56                         ; persistent_matmul.py:68:56
	v_add_co_u32 v0, vcc_lo, v16, v0
	v_add_co_ci_u32_e64 v1, null, v17, v1, vcc_lo
	.loc	1 74 25                         ; persistent_matmul.py:74:25
	global_store_b16 v[0:1], v2, off
.LBB0_480:                              ; %Flow
	.loc	1 0 25 is_stmt 0                ; persistent_matmul.py:0:25
	s_or_b32 exec_lo, exec_lo, s0
.LBB0_481:                              ; %Flow378
	s_mov_b32 s2, 0
.LBB0_482:                              ; %Flow384
	s_delay_alu instid0(SALU_CYCLE_1)
	s_and_b32 vcc_lo, exec_lo, s2
	s_cbranch_vccz .LBB0_614
; %bb.483:                              ; %.preheader
	.loc	1 43 59 is_stmt 1               ; persistent_matmul.py:43:59
	s_cmp_le_i32 s31, s15
	s_cbranch_scc1 .LBB0_614
; %bb.484:                              ; %.lr.ph10.preheader
	.loc	1 0 59 is_stmt 0                ; persistent_matmul.py:0:59
	s_abs_i32 s24, s33
	v_mov_b32_e32 v32, 0
	v_cvt_f32_u32_e32 v0, s24
	s_sub_i32 s1, 0, s24
	s_ashr_i32 s25, s33, 31
.Ltmp59:
	.loc	1 14 44 is_stmt 1               ; persistent_matmul.py:14:44 @[ persistent_matmul.py:65:90 ]
	s_sub_i32 s27, 0, s33
	s_delay_alu instid0(VALU_DEP_1) | instskip(SKIP_2) | instid1(VALU_DEP_1)
	v_rcp_iflag_f32_e32 v0, v0
	s_waitcnt_depctr depctr_va_vdst(0)
	v_mul_f32_e32 v0, 0x4f7ffffe, v0
	v_cvt_u32_f32_e32 v0, v0
	s_delay_alu instid0(VALU_DEP_1) | instskip(SKIP_1) | instid1(SALU_CYCLE_1)
	v_readfirstlane_b32 s0, v0
	s_mul_i32 s1, s1, s0
	s_mul_hi_u32 s1, s0, s1
	s_delay_alu instid0(SALU_CYCLE_1)
	s_add_i32 s26, s0, s1
	s_branch .LBB0_486
.Ltmp60:
.LBB0_485:                              ;   in Loop: Header=BB0_486 Depth=1
	.loc	1 0 44 is_stmt 0                ; persistent_matmul.py:0:44
	s_or_b32 exec_lo, exec_lo, s0
	.loc	1 43 59 is_stmt 1               ; persistent_matmul.py:43:59
	s_addk_i32 s15, 0x130
	s_delay_alu instid0(SALU_CYCLE_1)
	s_cmp_ge_i32 s15, s31
	s_cbranch_scc1 .LBB0_614
.LBB0_486:                              ; %.lr.ph10
                                        ; =>This Inner Loop Header: Depth=1
.Ltmp61:
	.loc	1 10 26                         ; persistent_matmul.py:10:26 @[ persistent_matmul.py:65:90 ]
	s_abs_i32 s0, s15
	s_ashr_i32 s2, s15, 31
	s_mul_hi_u32 s1, s0, s26
	s_xor_b32 s4, s2, s25
	s_mul_i32 s3, s1, s24
	s_add_i32 s5, s1, 1
	s_sub_i32 s3, s0, s3
	s_delay_alu instid0(SALU_CYCLE_1)
	s_sub_i32 s6, s3, s24
	s_cmp_ge_u32 s3, s24
	s_cselect_b32 s1, s5, s1
	s_cselect_b32 s3, s6, s3
	s_add_i32 s5, s1, 1
	s_cmp_ge_u32 s3, s24
	s_cselect_b32 s1, s5, s1
	s_delay_alu instid0(SALU_CYCLE_1) | instskip(NEXT) | instid1(SALU_CYCLE_1)
	s_xor_b32 s1, s1, s4
	s_sub_i32 s1, s1, s4
	s_delay_alu instid0(SALU_CYCLE_1) | instskip(SKIP_4) | instid1(SALU_CYCLE_1)
	.loc	1 11 29                         ; persistent_matmul.py:11:29 @[ persistent_matmul.py:65:90 ]
	s_lshl_b32 s3, s1, 3
	.loc	1 14 44                         ; persistent_matmul.py:14:44 @[ persistent_matmul.py:65:90 ]
	s_mul_i32 s8, s27, s1
	.loc	1 12 35                         ; persistent_matmul.py:12:35 @[ persistent_matmul.py:65:90 ]
	s_sub_i32 s4, s30, s3
	.loc	1 14 23                         ; persistent_matmul.py:14:23 @[ persistent_matmul.py:65:90 ]
	s_mul_i32 s1, s1, s33
	.loc	1 12 48                         ; persistent_matmul.py:12:48 @[ persistent_matmul.py:65:90 ]
	s_min_i32 s4, s4, 8
	.loc	1 13 37                         ; persistent_matmul.py:13:37 @[ persistent_matmul.py:65:90 ]
	s_abs_i32 s5, s4
	s_ashr_i32 s4, s4, 31
	v_cvt_f32_u32_e32 v0, s5
	s_sub_i32 s7, 0, s5
	s_delay_alu instid0(VALU_DEP_1) | instskip(SKIP_2) | instid1(VALU_DEP_1)
	v_rcp_iflag_f32_e32 v0, v0
	s_waitcnt_depctr depctr_va_vdst(0)
	v_mul_f32_e32 v0, 0x4f7ffffe, v0
	v_cvt_u32_f32_e32 v0, v0
	s_delay_alu instid0(VALU_DEP_1) | instskip(SKIP_1) | instid1(SALU_CYCLE_1)
	v_readfirstlane_b32 s6, v0
	s_mul_i32 s7, s7, s6
	s_mul_hi_u32 s7, s6, s7
	s_delay_alu instid0(SALU_CYCLE_1) | instskip(NEXT) | instid1(SALU_CYCLE_1)
	s_add_i32 s6, s6, s7
	s_mul_hi_u32 s7, s0, s6
	s_delay_alu instid0(SALU_CYCLE_1) | instskip(NEXT) | instid1(SALU_CYCLE_1)
	s_mul_i32 s7, s7, s5
	s_sub_i32 s0, s0, s7
	s_delay_alu instid0(SALU_CYCLE_1) | instskip(SKIP_2) | instid1(SALU_CYCLE_1)
	s_sub_i32 s7, s0, s5
	s_cmp_ge_u32 s0, s5
	s_cselect_b32 s0, s7, s0
	s_sub_i32 s7, s0, s5
	s_cmp_ge_u32 s0, s5
	s_cselect_b32 s0, s7, s0
	.loc	1 14 44                         ; persistent_matmul.py:14:44 @[ persistent_matmul.py:65:90 ]
	s_add_i32 s7, s15, s8
	.loc	1 13 37                         ; persistent_matmul.py:13:37 @[ persistent_matmul.py:65:90 ]
	s_xor_b32 s0, s0, s2
	.loc	1 14 44                         ; persistent_matmul.py:14:44 @[ persistent_matmul.py:65:90 ]
	s_ashr_i32 s7, s7, 31
	.loc	1 13 37                         ; persistent_matmul.py:13:37 @[ persistent_matmul.py:65:90 ]
	s_sub_i32 s0, s0, s2
	.loc	1 14 44                         ; persistent_matmul.py:14:44 @[ persistent_matmul.py:65:90 ]
	s_sub_i32 s1, s7, s1
	.loc	1 13 27                         ; persistent_matmul.py:13:27 @[ persistent_matmul.py:65:90 ]
	s_add_i32 s3, s3, s0
	.loc	1 14 44                         ; persistent_matmul.py:14:44 @[ persistent_matmul.py:65:90 ]
	s_add_i32 s1, s15, s1
	s_xor_b32 s4, s7, s4
	s_xor_b32 s1, s1, s7
	s_delay_alu instid0(SALU_CYCLE_1) | instskip(NEXT) | instid1(SALU_CYCLE_1)
	s_mul_hi_u32 s2, s1, s6
	s_mul_i32 s6, s2, s5
	s_delay_alu instid0(SALU_CYCLE_1)
	s_sub_i32 s0, s1, s6
	s_add_i32 s1, s2, 1
	s_sub_i32 s6, s0, s5
	s_cmp_ge_u32 s0, s5
	s_cselect_b32 s1, s1, s2
	s_cselect_b32 s0, s6, s0
	s_add_i32 s2, s1, 1
	s_cmp_ge_u32 s0, s5
	s_cselect_b32 s0, s2, s1
.Ltmp62:
	.loc	1 66 26                         ; persistent_matmul.py:66:26
	s_lshl_b32 s28, s3, 7
.Ltmp63:
	.loc	1 14 44                         ; persistent_matmul.py:14:44 @[ persistent_matmul.py:65:90 ]
	s_xor_b32 s0, s0, s4
.Ltmp64:
	.loc	1 66 41                         ; persistent_matmul.py:66:41
	v_or_b32_e32 v3, s28, v130
.Ltmp65:
	.loc	1 14 44                         ; persistent_matmul.py:14:44 @[ persistent_matmul.py:65:90 ]
	s_sub_i32 s0, s0, s4
	s_delay_alu instid0(SALU_CYCLE_1) | instskip(NEXT) | instid1(VALU_DEP_1)
.Ltmp66:
	.loc	1 67 26                         ; persistent_matmul.py:67:26
	s_lshl_b32 s17, s0, 7
	.loc	1 68 37                         ; persistent_matmul.py:68:37
	v_mul_lo_u32 v0, v3, s18
	.loc	1 67 41                         ; persistent_matmul.py:67:41
	v_or_b32_e32 v4, s17, v131
	.loc	1 69 37                         ; persistent_matmul.py:69:37
	v_cmp_gt_i32_e64 s16, s22, v3
	s_delay_alu instid0(VALU_DEP_2) | instskip(NEXT) | instid1(VALU_DEP_4)
	.loc	1 69 62 is_stmt 0               ; persistent_matmul.py:69:62
	v_cmp_gt_i32_e32 vcc_lo, s23, v4
	.loc	1 68 25 is_stmt 1               ; persistent_matmul.py:68:25
	v_ashrrev_i32_e32 v1, 31, v0
	s_delay_alu instid0(VALU_DEP_1) | instskip(SKIP_1) | instid1(VALU_DEP_2)
	v_lshlrev_b64 v[1:2], 1, v[0:1]
	.loc	1 68 68 is_stmt 0               ; persistent_matmul.py:68:68
	v_mul_lo_u32 v0, v4, s19
	.loc	1 68 25                         ; persistent_matmul.py:68:25
	v_add_co_u32 v33, s0, s20, v1
	s_delay_alu instid0(VALU_DEP_1) | instskip(NEXT) | instid1(VALU_DEP_3)
	v_add_co_ci_u32_e64 v34, null, s21, v2, s0
	.loc	1 68 56                         ; persistent_matmul.py:68:56
	v_ashrrev_i32_e32 v1, 31, v0
	.loc	1 69 43 is_stmt 1               ; persistent_matmul.py:69:43
	s_and_b32 s0, s16, vcc_lo
	s_delay_alu instid0(SALU_CYCLE_1)
	.loc	1 74 25                         ; persistent_matmul.py:74:25
	s_and_saveexec_b32 s1, s0
	s_cbranch_execz .LBB0_488
; %bb.487:                              ;   in Loop: Header=BB0_486 Depth=1
	.loc	1 0 25 is_stmt 0                ; persistent_matmul.py:0:25
	s_delay_alu instid0(VALU_DEP_1) | instskip(NEXT) | instid1(VALU_DEP_1)
	v_lshlrev_b64 v[2:3], 1, v[0:1]
	v_add_co_u32 v2, s0, v33, v2
	s_delay_alu instid0(VALU_DEP_1)
	v_add_co_ci_u32_e64 v3, null, v34, v3, s0
	.loc	1 74 25                         ; persistent_matmul.py:74:25
	global_store_b16 v[2:3], v32, off
.LBB0_488:                              ;   in Loop: Header=BB0_486 Depth=1
	.loc	1 0 25                          ; persistent_matmul.py:0:25
	s_or_b32 exec_lo, exec_lo, s1
	.loc	1 67 41 is_stmt 1               ; persistent_matmul.py:67:41
	v_or_b32_e32 v3, s17, v187
	s_delay_alu instid0(VALU_DEP_1)
	.loc	1 68 68                         ; persistent_matmul.py:68:68
	v_mul_lo_u32 v2, v3, s19
	.loc	1 69 62                         ; persistent_matmul.py:69:62
	v_cmp_gt_i32_e64 s0, s23, v3
	.loc	1 69 43 is_stmt 0               ; persistent_matmul.py:69:43
	s_and_b32 s1, s16, s0
	.loc	1 68 56 is_stmt 1               ; persistent_matmul.py:68:56
	v_ashrrev_i32_e32 v3, 31, v2
	.loc	1 74 25                         ; persistent_matmul.py:74:25
	s_and_saveexec_b32 s2, s1
	s_cbranch_execz .LBB0_490
; %bb.489:                              ;   in Loop: Header=BB0_486 Depth=1
	.loc	1 0 25 is_stmt 0                ; persistent_matmul.py:0:25
	s_delay_alu instid0(VALU_DEP_1) | instskip(NEXT) | instid1(VALU_DEP_1)
	.loc	1 68 56 is_stmt 1               ; persistent_matmul.py:68:56
	v_lshlrev_b64 v[4:5], 1, v[2:3]
	v_add_co_u32 v4, s1, v33, v4
	s_delay_alu instid0(VALU_DEP_1)
	v_add_co_ci_u32_e64 v5, null, v34, v5, s1
	.loc	1 74 25                         ; persistent_matmul.py:74:25
	global_store_b16 v[4:5], v32, off
.LBB0_490:                              ;   in Loop: Header=BB0_486 Depth=1
	.loc	1 0 25 is_stmt 0                ; persistent_matmul.py:0:25
	s_or_b32 exec_lo, exec_lo, s2
	.loc	1 67 41 is_stmt 1               ; persistent_matmul.py:67:41
	v_or_b32_e32 v5, s17, v193
	s_delay_alu instid0(VALU_DEP_1)
	.loc	1 68 68                         ; persistent_matmul.py:68:68
	v_mul_lo_u32 v4, v5, s19
	.loc	1 69 62                         ; persistent_matmul.py:69:62
	v_cmp_gt_i32_e64 s1, s23, v5
	.loc	1 69 43 is_stmt 0               ; persistent_matmul.py:69:43
	s_and_b32 s2, s16, s1
	.loc	1 68 56 is_stmt 1               ; persistent_matmul.py:68:56
	v_ashrrev_i32_e32 v5, 31, v4
	.loc	1 74 25                         ; persistent_matmul.py:74:25
	s_and_saveexec_b32 s3, s2
	s_cbranch_execz .LBB0_492
; %bb.491:                              ;   in Loop: Header=BB0_486 Depth=1
	.loc	1 0 25 is_stmt 0                ; persistent_matmul.py:0:25
	s_delay_alu instid0(VALU_DEP_1) | instskip(NEXT) | instid1(VALU_DEP_1)
	.loc	1 68 56 is_stmt 1               ; persistent_matmul.py:68:56
	v_lshlrev_b64 v[6:7], 1, v[4:5]
	v_add_co_u32 v6, s2, v33, v6
	s_delay_alu instid0(VALU_DEP_1)
	v_add_co_ci_u32_e64 v7, null, v34, v7, s2
	.loc	1 74 25                         ; persistent_matmul.py:74:25
	global_store_b16 v[6:7], v32, off
.LBB0_492:                              ;   in Loop: Header=BB0_486 Depth=1
	.loc	1 0 25 is_stmt 0                ; persistent_matmul.py:0:25
	;; [unrolled: 27-line block ×10, first 2 shown]
	s_or_b32 exec_lo, exec_lo, s11
	.loc	1 67 41 is_stmt 1               ; persistent_matmul.py:67:41
	scratch_load_b32 v22, off, off offset:280 ; 4-byte Folded Reload
	s_waitcnt vmcnt(0)
	v_or_b32_e32 v23, s17, v22
	s_delay_alu instid0(VALU_DEP_1)
	.loc	1 68 68                         ; persistent_matmul.py:68:68
	v_mul_lo_u32 v22, v23, s19
	.loc	1 69 62                         ; persistent_matmul.py:69:62
	v_cmp_gt_i32_e64 s10, s23, v23
	.loc	1 69 43 is_stmt 0               ; persistent_matmul.py:69:43
	s_and_b32 s11, s16, s10
	.loc	1 68 56 is_stmt 1               ; persistent_matmul.py:68:56
	v_ashrrev_i32_e32 v23, 31, v22
	.loc	1 74 25                         ; persistent_matmul.py:74:25
	s_and_saveexec_b32 s12, s11
	s_cbranch_execz .LBB0_510
; %bb.509:                              ;   in Loop: Header=BB0_486 Depth=1
	.loc	1 0 25 is_stmt 0                ; persistent_matmul.py:0:25
	s_delay_alu instid0(VALU_DEP_1) | instskip(NEXT) | instid1(VALU_DEP_1)
	.loc	1 68 56 is_stmt 1               ; persistent_matmul.py:68:56
	v_lshlrev_b64 v[24:25], 1, v[22:23]
	v_add_co_u32 v24, s11, v33, v24
	s_delay_alu instid0(VALU_DEP_1)
	v_add_co_ci_u32_e64 v25, null, v34, v25, s11
	.loc	1 74 25                         ; persistent_matmul.py:74:25
	global_store_b16 v[24:25], v32, off
.LBB0_510:                              ;   in Loop: Header=BB0_486 Depth=1
	.loc	1 0 25 is_stmt 0                ; persistent_matmul.py:0:25
	s_or_b32 exec_lo, exec_lo, s12
	.loc	1 67 41 is_stmt 1               ; persistent_matmul.py:67:41
	scratch_load_b32 v24, off, off offset:284 ; 4-byte Folded Reload
	s_waitcnt vmcnt(0)
	v_or_b32_e32 v25, s17, v24
	s_delay_alu instid0(VALU_DEP_1)
	.loc	1 68 68                         ; persistent_matmul.py:68:68
	v_mul_lo_u32 v24, v25, s19
	.loc	1 69 62                         ; persistent_matmul.py:69:62
	v_cmp_gt_i32_e64 s11, s23, v25
	.loc	1 69 43 is_stmt 0               ; persistent_matmul.py:69:43
	s_and_b32 s12, s16, s11
	.loc	1 68 56 is_stmt 1               ; persistent_matmul.py:68:56
	v_ashrrev_i32_e32 v25, 31, v24
	.loc	1 74 25                         ; persistent_matmul.py:74:25
	s_and_saveexec_b32 s13, s12
	s_cbranch_execz .LBB0_512
; %bb.511:                              ;   in Loop: Header=BB0_486 Depth=1
	.loc	1 0 25 is_stmt 0                ; persistent_matmul.py:0:25
	s_delay_alu instid0(VALU_DEP_1) | instskip(NEXT) | instid1(VALU_DEP_1)
	.loc	1 68 56 is_stmt 1               ; persistent_matmul.py:68:56
	v_lshlrev_b64 v[26:27], 1, v[24:25]
	v_add_co_u32 v26, s12, v33, v26
	s_delay_alu instid0(VALU_DEP_1)
	v_add_co_ci_u32_e64 v27, null, v34, v27, s12
	.loc	1 74 25                         ; persistent_matmul.py:74:25
	global_store_b16 v[26:27], v32, off
.LBB0_512:                              ;   in Loop: Header=BB0_486 Depth=1
	.loc	1 0 25 is_stmt 0                ; persistent_matmul.py:0:25
	;; [unrolled: 29-line block ×5, first 2 shown]
	s_or_b32 exec_lo, exec_lo, s17
	.loc	1 66 41 is_stmt 1               ; persistent_matmul.py:66:41
	v_or_b32_e32 v35, s28, v184
	s_delay_alu instid0(VALU_DEP_1) | instskip(SKIP_1) | instid1(VALU_DEP_2)
	.loc	1 68 37                         ; persistent_matmul.py:68:37
	v_mul_lo_u32 v33, v35, s18
	.loc	1 69 37                         ; persistent_matmul.py:69:37
	v_cmp_gt_i32_e64 s16, s22, v35
	.loc	1 68 25                         ; persistent_matmul.py:68:25
	v_ashrrev_i32_e32 v34, 31, v33
	s_delay_alu instid0(VALU_DEP_1) | instskip(NEXT) | instid1(VALU_DEP_1)
	v_lshlrev_b64 v[33:34], 1, v[33:34]
	v_add_co_u32 v33, s17, s20, v33
	s_delay_alu instid0(VALU_DEP_1) | instskip(SKIP_1) | instid1(SALU_CYCLE_1)
	v_add_co_ci_u32_e64 v34, null, s21, v34, s17
	.loc	1 69 43                         ; persistent_matmul.py:69:43
	s_and_b32 s17, s16, vcc_lo
	.loc	1 74 25                         ; persistent_matmul.py:74:25
	s_and_saveexec_b32 s29, s17
	s_cbranch_execnz .LBB0_568
; %bb.519:                              ;   in Loop: Header=BB0_486 Depth=1
	.loc	1 0 25 is_stmt 0                ; persistent_matmul.py:0:25
	s_or_b32 exec_lo, exec_lo, s29
	.loc	1 69 43 is_stmt 1               ; persistent_matmul.py:69:43
	s_and_b32 s17, s16, s0
	s_delay_alu instid0(SALU_CYCLE_1)
	.loc	1 74 25                         ; persistent_matmul.py:74:25
	s_and_saveexec_b32 s29, s17
	s_cbranch_execnz .LBB0_569
.LBB0_520:                              ;   in Loop: Header=BB0_486 Depth=1
	.loc	1 0 25 is_stmt 0                ; persistent_matmul.py:0:25
	s_or_b32 exec_lo, exec_lo, s29
	.loc	1 69 43 is_stmt 1               ; persistent_matmul.py:69:43
	s_and_b32 s17, s16, s1
	s_delay_alu instid0(SALU_CYCLE_1)
	.loc	1 74 25                         ; persistent_matmul.py:74:25
	s_and_saveexec_b32 s29, s17
	s_cbranch_execnz .LBB0_570
.LBB0_521:                              ;   in Loop: Header=BB0_486 Depth=1
	.loc	1 0 25 is_stmt 0                ; persistent_matmul.py:0:25
	s_or_b32 exec_lo, exec_lo, s29
	.loc	1 69 43 is_stmt 1               ; persistent_matmul.py:69:43
	s_and_b32 s17, s16, s2
	s_delay_alu instid0(SALU_CYCLE_1)
	.loc	1 74 25                         ; persistent_matmul.py:74:25
	s_and_saveexec_b32 s29, s17
	s_cbranch_execnz .LBB0_571
.LBB0_522:                              ;   in Loop: Header=BB0_486 Depth=1
	.loc	1 0 25 is_stmt 0                ; persistent_matmul.py:0:25
	s_or_b32 exec_lo, exec_lo, s29
	.loc	1 69 43 is_stmt 1               ; persistent_matmul.py:69:43
	s_and_b32 s17, s16, s3
	s_delay_alu instid0(SALU_CYCLE_1)
	.loc	1 74 25                         ; persistent_matmul.py:74:25
	s_and_saveexec_b32 s29, s17
	s_cbranch_execnz .LBB0_572
.LBB0_523:                              ;   in Loop: Header=BB0_486 Depth=1
	.loc	1 0 25 is_stmt 0                ; persistent_matmul.py:0:25
	s_or_b32 exec_lo, exec_lo, s29
	.loc	1 69 43 is_stmt 1               ; persistent_matmul.py:69:43
	s_and_b32 s17, s16, s4
	s_delay_alu instid0(SALU_CYCLE_1)
	.loc	1 74 25                         ; persistent_matmul.py:74:25
	s_and_saveexec_b32 s29, s17
	s_cbranch_execnz .LBB0_573
.LBB0_524:                              ;   in Loop: Header=BB0_486 Depth=1
	.loc	1 0 25 is_stmt 0                ; persistent_matmul.py:0:25
	s_or_b32 exec_lo, exec_lo, s29
	.loc	1 69 43 is_stmt 1               ; persistent_matmul.py:69:43
	s_and_b32 s17, s16, s5
	s_delay_alu instid0(SALU_CYCLE_1)
	.loc	1 74 25                         ; persistent_matmul.py:74:25
	s_and_saveexec_b32 s29, s17
	s_cbranch_execnz .LBB0_574
.LBB0_525:                              ;   in Loop: Header=BB0_486 Depth=1
	.loc	1 0 25 is_stmt 0                ; persistent_matmul.py:0:25
	s_or_b32 exec_lo, exec_lo, s29
	.loc	1 69 43 is_stmt 1               ; persistent_matmul.py:69:43
	s_and_b32 s17, s16, s6
	s_delay_alu instid0(SALU_CYCLE_1)
	.loc	1 74 25                         ; persistent_matmul.py:74:25
	s_and_saveexec_b32 s29, s17
	s_cbranch_execnz .LBB0_575
.LBB0_526:                              ;   in Loop: Header=BB0_486 Depth=1
	.loc	1 0 25 is_stmt 0                ; persistent_matmul.py:0:25
	s_or_b32 exec_lo, exec_lo, s29
	.loc	1 69 43 is_stmt 1               ; persistent_matmul.py:69:43
	s_and_b32 s17, s16, s7
	s_delay_alu instid0(SALU_CYCLE_1)
	.loc	1 74 25                         ; persistent_matmul.py:74:25
	s_and_saveexec_b32 s29, s17
	s_cbranch_execnz .LBB0_576
.LBB0_527:                              ;   in Loop: Header=BB0_486 Depth=1
	.loc	1 0 25 is_stmt 0                ; persistent_matmul.py:0:25
	s_or_b32 exec_lo, exec_lo, s29
	.loc	1 69 43 is_stmt 1               ; persistent_matmul.py:69:43
	s_and_b32 s17, s16, s8
	s_delay_alu instid0(SALU_CYCLE_1)
	.loc	1 74 25                         ; persistent_matmul.py:74:25
	s_and_saveexec_b32 s29, s17
	s_cbranch_execnz .LBB0_577
.LBB0_528:                              ;   in Loop: Header=BB0_486 Depth=1
	.loc	1 0 25 is_stmt 0                ; persistent_matmul.py:0:25
	s_or_b32 exec_lo, exec_lo, s29
	.loc	1 69 43 is_stmt 1               ; persistent_matmul.py:69:43
	s_and_b32 s17, s16, s9
	s_delay_alu instid0(SALU_CYCLE_1)
	.loc	1 74 25                         ; persistent_matmul.py:74:25
	s_and_saveexec_b32 s29, s17
	s_cbranch_execnz .LBB0_578
.LBB0_529:                              ;   in Loop: Header=BB0_486 Depth=1
	.loc	1 0 25 is_stmt 0                ; persistent_matmul.py:0:25
	s_or_b32 exec_lo, exec_lo, s29
	.loc	1 69 43 is_stmt 1               ; persistent_matmul.py:69:43
	s_and_b32 s17, s16, s10
	s_delay_alu instid0(SALU_CYCLE_1)
	.loc	1 74 25                         ; persistent_matmul.py:74:25
	s_and_saveexec_b32 s29, s17
	s_cbranch_execnz .LBB0_579
.LBB0_530:                              ;   in Loop: Header=BB0_486 Depth=1
	.loc	1 0 25 is_stmt 0                ; persistent_matmul.py:0:25
	s_or_b32 exec_lo, exec_lo, s29
	.loc	1 69 43 is_stmt 1               ; persistent_matmul.py:69:43
	s_and_b32 s17, s16, s11
	s_delay_alu instid0(SALU_CYCLE_1)
	.loc	1 74 25                         ; persistent_matmul.py:74:25
	s_and_saveexec_b32 s29, s17
	s_cbranch_execnz .LBB0_580
.LBB0_531:                              ;   in Loop: Header=BB0_486 Depth=1
	.loc	1 0 25 is_stmt 0                ; persistent_matmul.py:0:25
	s_or_b32 exec_lo, exec_lo, s29
	.loc	1 69 43 is_stmt 1               ; persistent_matmul.py:69:43
	s_and_b32 s17, s16, s12
	s_delay_alu instid0(SALU_CYCLE_1)
	.loc	1 74 25                         ; persistent_matmul.py:74:25
	s_and_saveexec_b32 s29, s17
	s_cbranch_execnz .LBB0_581
.LBB0_532:                              ;   in Loop: Header=BB0_486 Depth=1
	.loc	1 0 25 is_stmt 0                ; persistent_matmul.py:0:25
	s_or_b32 exec_lo, exec_lo, s29
	.loc	1 69 43 is_stmt 1               ; persistent_matmul.py:69:43
	s_and_b32 s17, s16, s13
	s_delay_alu instid0(SALU_CYCLE_1)
	.loc	1 74 25                         ; persistent_matmul.py:74:25
	s_and_saveexec_b32 s29, s17
	s_cbranch_execnz .LBB0_582
.LBB0_533:                              ;   in Loop: Header=BB0_486 Depth=1
	.loc	1 0 25 is_stmt 0                ; persistent_matmul.py:0:25
	s_or_b32 exec_lo, exec_lo, s29
	.loc	1 69 43 is_stmt 1               ; persistent_matmul.py:69:43
	s_and_b32 s16, s16, s14
	s_delay_alu instid0(SALU_CYCLE_1)
	.loc	1 74 25                         ; persistent_matmul.py:74:25
	s_and_saveexec_b32 s17, s16
	s_cbranch_execz .LBB0_535
.LBB0_534:                              ;   in Loop: Header=BB0_486 Depth=1
	.loc	1 68 56                         ; persistent_matmul.py:68:56
	v_lshlrev_b64 v[35:36], 1, v[30:31]
	s_delay_alu instid0(VALU_DEP_1) | instskip(NEXT) | instid1(VALU_DEP_1)
	v_add_co_u32 v33, s16, v33, v35
	v_add_co_ci_u32_e64 v34, null, v34, v36, s16
	.loc	1 74 25                         ; persistent_matmul.py:74:25
	global_store_b16 v[33:34], v32, off
.LBB0_535:                              ;   in Loop: Header=BB0_486 Depth=1
	.loc	1 0 25 is_stmt 0                ; persistent_matmul.py:0:25
	s_or_b32 exec_lo, exec_lo, s17
	.loc	1 66 41 is_stmt 1               ; persistent_matmul.py:66:41
	v_or_b32_e32 v35, s28, v185
	s_delay_alu instid0(VALU_DEP_1) | instskip(SKIP_1) | instid1(VALU_DEP_2)
	.loc	1 68 37                         ; persistent_matmul.py:68:37
	v_mul_lo_u32 v33, v35, s18
	.loc	1 69 37                         ; persistent_matmul.py:69:37
	v_cmp_gt_i32_e64 s16, s22, v35
	.loc	1 68 25                         ; persistent_matmul.py:68:25
	v_ashrrev_i32_e32 v34, 31, v33
	s_delay_alu instid0(VALU_DEP_1) | instskip(NEXT) | instid1(VALU_DEP_1)
	v_lshlrev_b64 v[33:34], 1, v[33:34]
	v_add_co_u32 v33, s17, s20, v33
	s_delay_alu instid0(VALU_DEP_1) | instskip(SKIP_1) | instid1(SALU_CYCLE_1)
	v_add_co_ci_u32_e64 v34, null, s21, v34, s17
	.loc	1 69 43                         ; persistent_matmul.py:69:43
	s_and_b32 s17, s16, vcc_lo
	.loc	1 74 25                         ; persistent_matmul.py:74:25
	s_and_saveexec_b32 s29, s17
	s_cbranch_execnz .LBB0_583
; %bb.536:                              ;   in Loop: Header=BB0_486 Depth=1
	.loc	1 0 25 is_stmt 0                ; persistent_matmul.py:0:25
	s_or_b32 exec_lo, exec_lo, s29
	.loc	1 69 43 is_stmt 1               ; persistent_matmul.py:69:43
	s_and_b32 s17, s16, s0
	s_delay_alu instid0(SALU_CYCLE_1)
	.loc	1 74 25                         ; persistent_matmul.py:74:25
	s_and_saveexec_b32 s29, s17
	s_cbranch_execnz .LBB0_584
.LBB0_537:                              ;   in Loop: Header=BB0_486 Depth=1
	.loc	1 0 25 is_stmt 0                ; persistent_matmul.py:0:25
	s_or_b32 exec_lo, exec_lo, s29
	.loc	1 69 43 is_stmt 1               ; persistent_matmul.py:69:43
	s_and_b32 s17, s16, s1
	s_delay_alu instid0(SALU_CYCLE_1)
	.loc	1 74 25                         ; persistent_matmul.py:74:25
	s_and_saveexec_b32 s29, s17
	s_cbranch_execnz .LBB0_585
.LBB0_538:                              ;   in Loop: Header=BB0_486 Depth=1
	.loc	1 0 25 is_stmt 0                ; persistent_matmul.py:0:25
	s_or_b32 exec_lo, exec_lo, s29
	.loc	1 69 43 is_stmt 1               ; persistent_matmul.py:69:43
	s_and_b32 s17, s16, s2
	s_delay_alu instid0(SALU_CYCLE_1)
	.loc	1 74 25                         ; persistent_matmul.py:74:25
	s_and_saveexec_b32 s29, s17
	s_cbranch_execnz .LBB0_586
.LBB0_539:                              ;   in Loop: Header=BB0_486 Depth=1
	.loc	1 0 25 is_stmt 0                ; persistent_matmul.py:0:25
	s_or_b32 exec_lo, exec_lo, s29
	.loc	1 69 43 is_stmt 1               ; persistent_matmul.py:69:43
	s_and_b32 s17, s16, s3
	s_delay_alu instid0(SALU_CYCLE_1)
	.loc	1 74 25                         ; persistent_matmul.py:74:25
	s_and_saveexec_b32 s29, s17
	s_cbranch_execnz .LBB0_587
.LBB0_540:                              ;   in Loop: Header=BB0_486 Depth=1
	.loc	1 0 25 is_stmt 0                ; persistent_matmul.py:0:25
	s_or_b32 exec_lo, exec_lo, s29
	.loc	1 69 43 is_stmt 1               ; persistent_matmul.py:69:43
	s_and_b32 s17, s16, s4
	s_delay_alu instid0(SALU_CYCLE_1)
	.loc	1 74 25                         ; persistent_matmul.py:74:25
	s_and_saveexec_b32 s29, s17
	s_cbranch_execnz .LBB0_588
.LBB0_541:                              ;   in Loop: Header=BB0_486 Depth=1
	.loc	1 0 25 is_stmt 0                ; persistent_matmul.py:0:25
	s_or_b32 exec_lo, exec_lo, s29
	.loc	1 69 43 is_stmt 1               ; persistent_matmul.py:69:43
	s_and_b32 s17, s16, s5
	s_delay_alu instid0(SALU_CYCLE_1)
	.loc	1 74 25                         ; persistent_matmul.py:74:25
	s_and_saveexec_b32 s29, s17
	s_cbranch_execnz .LBB0_589
.LBB0_542:                              ;   in Loop: Header=BB0_486 Depth=1
	.loc	1 0 25 is_stmt 0                ; persistent_matmul.py:0:25
	s_or_b32 exec_lo, exec_lo, s29
	.loc	1 69 43 is_stmt 1               ; persistent_matmul.py:69:43
	s_and_b32 s17, s16, s6
	s_delay_alu instid0(SALU_CYCLE_1)
	.loc	1 74 25                         ; persistent_matmul.py:74:25
	s_and_saveexec_b32 s29, s17
	s_cbranch_execnz .LBB0_590
.LBB0_543:                              ;   in Loop: Header=BB0_486 Depth=1
	.loc	1 0 25 is_stmt 0                ; persistent_matmul.py:0:25
	s_or_b32 exec_lo, exec_lo, s29
	.loc	1 69 43 is_stmt 1               ; persistent_matmul.py:69:43
	s_and_b32 s17, s16, s7
	s_delay_alu instid0(SALU_CYCLE_1)
	.loc	1 74 25                         ; persistent_matmul.py:74:25
	s_and_saveexec_b32 s29, s17
	s_cbranch_execnz .LBB0_591
.LBB0_544:                              ;   in Loop: Header=BB0_486 Depth=1
	.loc	1 0 25 is_stmt 0                ; persistent_matmul.py:0:25
	s_or_b32 exec_lo, exec_lo, s29
	.loc	1 69 43 is_stmt 1               ; persistent_matmul.py:69:43
	s_and_b32 s17, s16, s8
	s_delay_alu instid0(SALU_CYCLE_1)
	.loc	1 74 25                         ; persistent_matmul.py:74:25
	s_and_saveexec_b32 s29, s17
	s_cbranch_execnz .LBB0_592
.LBB0_545:                              ;   in Loop: Header=BB0_486 Depth=1
	.loc	1 0 25 is_stmt 0                ; persistent_matmul.py:0:25
	s_or_b32 exec_lo, exec_lo, s29
	.loc	1 69 43 is_stmt 1               ; persistent_matmul.py:69:43
	s_and_b32 s17, s16, s9
	s_delay_alu instid0(SALU_CYCLE_1)
	.loc	1 74 25                         ; persistent_matmul.py:74:25
	s_and_saveexec_b32 s29, s17
	s_cbranch_execnz .LBB0_593
.LBB0_546:                              ;   in Loop: Header=BB0_486 Depth=1
	.loc	1 0 25 is_stmt 0                ; persistent_matmul.py:0:25
	s_or_b32 exec_lo, exec_lo, s29
	.loc	1 69 43 is_stmt 1               ; persistent_matmul.py:69:43
	s_and_b32 s17, s16, s10
	s_delay_alu instid0(SALU_CYCLE_1)
	.loc	1 74 25                         ; persistent_matmul.py:74:25
	s_and_saveexec_b32 s29, s17
	s_cbranch_execnz .LBB0_594
.LBB0_547:                              ;   in Loop: Header=BB0_486 Depth=1
	.loc	1 0 25 is_stmt 0                ; persistent_matmul.py:0:25
	s_or_b32 exec_lo, exec_lo, s29
	.loc	1 69 43 is_stmt 1               ; persistent_matmul.py:69:43
	s_and_b32 s17, s16, s11
	s_delay_alu instid0(SALU_CYCLE_1)
	.loc	1 74 25                         ; persistent_matmul.py:74:25
	s_and_saveexec_b32 s29, s17
	s_cbranch_execnz .LBB0_595
.LBB0_548:                              ;   in Loop: Header=BB0_486 Depth=1
	.loc	1 0 25 is_stmt 0                ; persistent_matmul.py:0:25
	s_or_b32 exec_lo, exec_lo, s29
	.loc	1 69 43 is_stmt 1               ; persistent_matmul.py:69:43
	s_and_b32 s17, s16, s12
	s_delay_alu instid0(SALU_CYCLE_1)
	.loc	1 74 25                         ; persistent_matmul.py:74:25
	s_and_saveexec_b32 s29, s17
	s_cbranch_execnz .LBB0_596
.LBB0_549:                              ;   in Loop: Header=BB0_486 Depth=1
	.loc	1 0 25 is_stmt 0                ; persistent_matmul.py:0:25
	s_or_b32 exec_lo, exec_lo, s29
	.loc	1 69 43 is_stmt 1               ; persistent_matmul.py:69:43
	s_and_b32 s17, s16, s13
	s_delay_alu instid0(SALU_CYCLE_1)
	.loc	1 74 25                         ; persistent_matmul.py:74:25
	s_and_saveexec_b32 s29, s17
	s_cbranch_execnz .LBB0_597
.LBB0_550:                              ;   in Loop: Header=BB0_486 Depth=1
	.loc	1 0 25 is_stmt 0                ; persistent_matmul.py:0:25
	s_or_b32 exec_lo, exec_lo, s29
	.loc	1 69 43 is_stmt 1               ; persistent_matmul.py:69:43
	s_and_b32 s16, s16, s14
	s_delay_alu instid0(SALU_CYCLE_1)
	.loc	1 74 25                         ; persistent_matmul.py:74:25
	s_and_saveexec_b32 s17, s16
	s_cbranch_execz .LBB0_552
.LBB0_551:                              ;   in Loop: Header=BB0_486 Depth=1
	.loc	1 68 56                         ; persistent_matmul.py:68:56
	v_lshlrev_b64 v[35:36], 1, v[30:31]
	s_delay_alu instid0(VALU_DEP_1) | instskip(NEXT) | instid1(VALU_DEP_1)
	v_add_co_u32 v33, s16, v33, v35
	v_add_co_ci_u32_e64 v34, null, v34, v36, s16
	.loc	1 74 25                         ; persistent_matmul.py:74:25
	global_store_b16 v[33:34], v32, off
.LBB0_552:                              ;   in Loop: Header=BB0_486 Depth=1
	.loc	1 0 25 is_stmt 0                ; persistent_matmul.py:0:25
	s_or_b32 exec_lo, exec_lo, s17
	.loc	1 66 41 is_stmt 1               ; persistent_matmul.py:66:41
	v_or_b32_e32 v35, s28, v186
	s_delay_alu instid0(VALU_DEP_1) | instskip(SKIP_3) | instid1(VALU_DEP_1)
	.loc	1 68 37                         ; persistent_matmul.py:68:37
	v_mul_lo_u32 v33, v35, s18
	.loc	1 69 37                         ; persistent_matmul.py:69:37
	v_cmp_gt_i32_e64 s16, s22, v35
	.loc	1 69 43 is_stmt 0               ; persistent_matmul.py:69:43
	s_and_b32 s28, s16, vcc_lo
	.loc	1 68 25 is_stmt 1               ; persistent_matmul.py:68:25
	v_ashrrev_i32_e32 v34, 31, v33
	v_lshlrev_b64 v[33:34], 1, v[33:34]
	s_delay_alu instid0(VALU_DEP_1) | instskip(NEXT) | instid1(VALU_DEP_1)
	v_add_co_u32 v33, s17, s20, v33
	v_add_co_ci_u32_e64 v34, null, s21, v34, s17
	.loc	1 74 25                         ; persistent_matmul.py:74:25
	s_and_saveexec_b32 s17, s28
	s_cbranch_execnz .LBB0_598
; %bb.553:                              ;   in Loop: Header=BB0_486 Depth=1
	.loc	1 0 25 is_stmt 0                ; persistent_matmul.py:0:25
	s_or_b32 exec_lo, exec_lo, s17
	.loc	1 69 43 is_stmt 1               ; persistent_matmul.py:69:43
	s_and_b32 s17, s16, s0
	s_delay_alu instid0(SALU_CYCLE_1)
	.loc	1 74 25                         ; persistent_matmul.py:74:25
	s_and_saveexec_b32 s0, s17
	s_cbranch_execnz .LBB0_599
.LBB0_554:                              ;   in Loop: Header=BB0_486 Depth=1
	.loc	1 0 25 is_stmt 0                ; persistent_matmul.py:0:25
	s_or_b32 exec_lo, exec_lo, s0
	.loc	1 69 43 is_stmt 1               ; persistent_matmul.py:69:43
	s_and_b32 s1, s16, s1
	s_delay_alu instid0(SALU_CYCLE_1)
	.loc	1 74 25                         ; persistent_matmul.py:74:25
	s_and_saveexec_b32 s0, s1
	s_cbranch_execnz .LBB0_600
.LBB0_555:                              ;   in Loop: Header=BB0_486 Depth=1
	.loc	1 0 25 is_stmt 0                ; persistent_matmul.py:0:25
	s_or_b32 exec_lo, exec_lo, s0
	.loc	1 69 43 is_stmt 1               ; persistent_matmul.py:69:43
	s_and_b32 s1, s16, s2
	s_delay_alu instid0(SALU_CYCLE_1)
	.loc	1 74 25                         ; persistent_matmul.py:74:25
	s_and_saveexec_b32 s0, s1
	s_cbranch_execnz .LBB0_601
.LBB0_556:                              ;   in Loop: Header=BB0_486 Depth=1
	.loc	1 0 25 is_stmt 0                ; persistent_matmul.py:0:25
	s_or_b32 exec_lo, exec_lo, s0
	.loc	1 69 43 is_stmt 1               ; persistent_matmul.py:69:43
	s_and_b32 s1, s16, s3
	s_delay_alu instid0(SALU_CYCLE_1)
	.loc	1 74 25                         ; persistent_matmul.py:74:25
	s_and_saveexec_b32 s0, s1
	s_cbranch_execnz .LBB0_602
.LBB0_557:                              ;   in Loop: Header=BB0_486 Depth=1
	.loc	1 0 25 is_stmt 0                ; persistent_matmul.py:0:25
	s_or_b32 exec_lo, exec_lo, s0
	.loc	1 69 43 is_stmt 1               ; persistent_matmul.py:69:43
	s_and_b32 s1, s16, s4
	s_delay_alu instid0(SALU_CYCLE_1)
	.loc	1 74 25                         ; persistent_matmul.py:74:25
	s_and_saveexec_b32 s0, s1
	s_cbranch_execnz .LBB0_603
.LBB0_558:                              ;   in Loop: Header=BB0_486 Depth=1
	.loc	1 0 25 is_stmt 0                ; persistent_matmul.py:0:25
	s_or_b32 exec_lo, exec_lo, s0
	.loc	1 69 43 is_stmt 1               ; persistent_matmul.py:69:43
	s_and_b32 s1, s16, s5
	s_delay_alu instid0(SALU_CYCLE_1)
	.loc	1 74 25                         ; persistent_matmul.py:74:25
	s_and_saveexec_b32 s0, s1
	s_cbranch_execnz .LBB0_604
.LBB0_559:                              ;   in Loop: Header=BB0_486 Depth=1
	.loc	1 0 25 is_stmt 0                ; persistent_matmul.py:0:25
	s_or_b32 exec_lo, exec_lo, s0
	.loc	1 69 43 is_stmt 1               ; persistent_matmul.py:69:43
	s_and_b32 s1, s16, s6
	s_delay_alu instid0(SALU_CYCLE_1)
	.loc	1 74 25                         ; persistent_matmul.py:74:25
	s_and_saveexec_b32 s0, s1
	s_cbranch_execnz .LBB0_605
.LBB0_560:                              ;   in Loop: Header=BB0_486 Depth=1
	.loc	1 0 25 is_stmt 0                ; persistent_matmul.py:0:25
	s_or_b32 exec_lo, exec_lo, s0
	.loc	1 69 43 is_stmt 1               ; persistent_matmul.py:69:43
	s_and_b32 s1, s16, s7
	s_delay_alu instid0(SALU_CYCLE_1)
	.loc	1 74 25                         ; persistent_matmul.py:74:25
	s_and_saveexec_b32 s0, s1
	s_cbranch_execnz .LBB0_606
.LBB0_561:                              ;   in Loop: Header=BB0_486 Depth=1
	.loc	1 0 25 is_stmt 0                ; persistent_matmul.py:0:25
	s_or_b32 exec_lo, exec_lo, s0
	.loc	1 69 43 is_stmt 1               ; persistent_matmul.py:69:43
	s_and_b32 s1, s16, s8
	s_delay_alu instid0(SALU_CYCLE_1)
	.loc	1 74 25                         ; persistent_matmul.py:74:25
	s_and_saveexec_b32 s0, s1
	s_cbranch_execnz .LBB0_607
.LBB0_562:                              ;   in Loop: Header=BB0_486 Depth=1
	.loc	1 0 25 is_stmt 0                ; persistent_matmul.py:0:25
	s_or_b32 exec_lo, exec_lo, s0
	.loc	1 69 43 is_stmt 1               ; persistent_matmul.py:69:43
	s_and_b32 s1, s16, s9
	s_delay_alu instid0(SALU_CYCLE_1)
	.loc	1 74 25                         ; persistent_matmul.py:74:25
	s_and_saveexec_b32 s0, s1
	s_cbranch_execnz .LBB0_608
.LBB0_563:                              ;   in Loop: Header=BB0_486 Depth=1
	.loc	1 0 25 is_stmt 0                ; persistent_matmul.py:0:25
	s_or_b32 exec_lo, exec_lo, s0
	.loc	1 69 43 is_stmt 1               ; persistent_matmul.py:69:43
	s_and_b32 s1, s16, s10
	s_delay_alu instid0(SALU_CYCLE_1)
	.loc	1 74 25                         ; persistent_matmul.py:74:25
	s_and_saveexec_b32 s0, s1
	s_cbranch_execnz .LBB0_609
.LBB0_564:                              ;   in Loop: Header=BB0_486 Depth=1
	.loc	1 0 25 is_stmt 0                ; persistent_matmul.py:0:25
	s_or_b32 exec_lo, exec_lo, s0
	.loc	1 69 43 is_stmt 1               ; persistent_matmul.py:69:43
	s_and_b32 s1, s16, s11
	s_delay_alu instid0(SALU_CYCLE_1)
	.loc	1 74 25                         ; persistent_matmul.py:74:25
	s_and_saveexec_b32 s0, s1
	s_cbranch_execnz .LBB0_610
.LBB0_565:                              ;   in Loop: Header=BB0_486 Depth=1
	.loc	1 0 25 is_stmt 0                ; persistent_matmul.py:0:25
	s_or_b32 exec_lo, exec_lo, s0
	.loc	1 69 43 is_stmt 1               ; persistent_matmul.py:69:43
	s_and_b32 s1, s16, s12
	s_delay_alu instid0(SALU_CYCLE_1)
	.loc	1 74 25                         ; persistent_matmul.py:74:25
	s_and_saveexec_b32 s0, s1
	s_cbranch_execnz .LBB0_611
.LBB0_566:                              ;   in Loop: Header=BB0_486 Depth=1
	.loc	1 0 25 is_stmt 0                ; persistent_matmul.py:0:25
	s_or_b32 exec_lo, exec_lo, s0
	.loc	1 69 43 is_stmt 1               ; persistent_matmul.py:69:43
	s_and_b32 s1, s16, s13
	s_delay_alu instid0(SALU_CYCLE_1)
	.loc	1 74 25                         ; persistent_matmul.py:74:25
	s_and_saveexec_b32 s0, s1
	s_cbranch_execnz .LBB0_612
.LBB0_567:                              ;   in Loop: Header=BB0_486 Depth=1
	.loc	1 0 25 is_stmt 0                ; persistent_matmul.py:0:25
	s_or_b32 exec_lo, exec_lo, s0
	.loc	1 69 43 is_stmt 1               ; persistent_matmul.py:69:43
	s_and_b32 s1, s16, s14
	s_delay_alu instid0(SALU_CYCLE_1)
	.loc	1 74 25                         ; persistent_matmul.py:74:25
	s_and_saveexec_b32 s0, s1
	s_cbranch_execz .LBB0_485
	s_branch .LBB0_613
.LBB0_568:                              ;   in Loop: Header=BB0_486 Depth=1
	.loc	1 68 56                         ; persistent_matmul.py:68:56
	v_lshlrev_b64 v[35:36], 1, v[0:1]
	s_delay_alu instid0(VALU_DEP_1) | instskip(NEXT) | instid1(VALU_DEP_1)
	v_add_co_u32 v35, s17, v33, v35
	v_add_co_ci_u32_e64 v36, null, v34, v36, s17
	.loc	1 74 25                         ; persistent_matmul.py:74:25
	global_store_b16 v[35:36], v32, off
	s_or_b32 exec_lo, exec_lo, s29
	.loc	1 69 43                         ; persistent_matmul.py:69:43
	s_and_b32 s17, s16, s0
	s_delay_alu instid0(SALU_CYCLE_1)
	.loc	1 74 25                         ; persistent_matmul.py:74:25
	s_and_saveexec_b32 s29, s17
	s_cbranch_execz .LBB0_520
.LBB0_569:                              ;   in Loop: Header=BB0_486 Depth=1
	.loc	1 68 56                         ; persistent_matmul.py:68:56
	v_lshlrev_b64 v[35:36], 1, v[2:3]
	s_delay_alu instid0(VALU_DEP_1) | instskip(NEXT) | instid1(VALU_DEP_1)
	v_add_co_u32 v35, s17, v33, v35
	v_add_co_ci_u32_e64 v36, null, v34, v36, s17
	.loc	1 74 25                         ; persistent_matmul.py:74:25
	global_store_b16 v[35:36], v32, off
	s_or_b32 exec_lo, exec_lo, s29
	.loc	1 69 43                         ; persistent_matmul.py:69:43
	s_and_b32 s17, s16, s1
	s_delay_alu instid0(SALU_CYCLE_1)
	.loc	1 74 25                         ; persistent_matmul.py:74:25
	s_and_saveexec_b32 s29, s17
	s_cbranch_execz .LBB0_521
.LBB0_570:                              ;   in Loop: Header=BB0_486 Depth=1
	.loc	1 68 56                         ; persistent_matmul.py:68:56
	v_lshlrev_b64 v[35:36], 1, v[4:5]
	s_delay_alu instid0(VALU_DEP_1) | instskip(NEXT) | instid1(VALU_DEP_1)
	v_add_co_u32 v35, s17, v33, v35
	v_add_co_ci_u32_e64 v36, null, v34, v36, s17
	.loc	1 74 25                         ; persistent_matmul.py:74:25
	global_store_b16 v[35:36], v32, off
	s_or_b32 exec_lo, exec_lo, s29
	.loc	1 69 43                         ; persistent_matmul.py:69:43
	s_and_b32 s17, s16, s2
	s_delay_alu instid0(SALU_CYCLE_1)
	.loc	1 74 25                         ; persistent_matmul.py:74:25
	s_and_saveexec_b32 s29, s17
	s_cbranch_execz .LBB0_522
.LBB0_571:                              ;   in Loop: Header=BB0_486 Depth=1
	.loc	1 68 56                         ; persistent_matmul.py:68:56
	v_lshlrev_b64 v[35:36], 1, v[6:7]
	s_delay_alu instid0(VALU_DEP_1) | instskip(NEXT) | instid1(VALU_DEP_1)
	v_add_co_u32 v35, s17, v33, v35
	v_add_co_ci_u32_e64 v36, null, v34, v36, s17
	.loc	1 74 25                         ; persistent_matmul.py:74:25
	global_store_b16 v[35:36], v32, off
	s_or_b32 exec_lo, exec_lo, s29
	.loc	1 69 43                         ; persistent_matmul.py:69:43
	s_and_b32 s17, s16, s3
	s_delay_alu instid0(SALU_CYCLE_1)
	.loc	1 74 25                         ; persistent_matmul.py:74:25
	s_and_saveexec_b32 s29, s17
	s_cbranch_execz .LBB0_523
.LBB0_572:                              ;   in Loop: Header=BB0_486 Depth=1
	.loc	1 68 56                         ; persistent_matmul.py:68:56
	v_lshlrev_b64 v[35:36], 1, v[8:9]
	s_delay_alu instid0(VALU_DEP_1) | instskip(NEXT) | instid1(VALU_DEP_1)
	v_add_co_u32 v35, s17, v33, v35
	v_add_co_ci_u32_e64 v36, null, v34, v36, s17
	.loc	1 74 25                         ; persistent_matmul.py:74:25
	global_store_b16 v[35:36], v32, off
	s_or_b32 exec_lo, exec_lo, s29
	.loc	1 69 43                         ; persistent_matmul.py:69:43
	s_and_b32 s17, s16, s4
	s_delay_alu instid0(SALU_CYCLE_1)
	.loc	1 74 25                         ; persistent_matmul.py:74:25
	s_and_saveexec_b32 s29, s17
	s_cbranch_execz .LBB0_524
.LBB0_573:                              ;   in Loop: Header=BB0_486 Depth=1
	.loc	1 68 56                         ; persistent_matmul.py:68:56
	v_lshlrev_b64 v[35:36], 1, v[10:11]
	s_delay_alu instid0(VALU_DEP_1) | instskip(NEXT) | instid1(VALU_DEP_1)
	v_add_co_u32 v35, s17, v33, v35
	v_add_co_ci_u32_e64 v36, null, v34, v36, s17
	.loc	1 74 25                         ; persistent_matmul.py:74:25
	global_store_b16 v[35:36], v32, off
	s_or_b32 exec_lo, exec_lo, s29
	.loc	1 69 43                         ; persistent_matmul.py:69:43
	s_and_b32 s17, s16, s5
	s_delay_alu instid0(SALU_CYCLE_1)
	.loc	1 74 25                         ; persistent_matmul.py:74:25
	s_and_saveexec_b32 s29, s17
	s_cbranch_execz .LBB0_525
.LBB0_574:                              ;   in Loop: Header=BB0_486 Depth=1
	.loc	1 68 56                         ; persistent_matmul.py:68:56
	v_lshlrev_b64 v[35:36], 1, v[12:13]
	s_delay_alu instid0(VALU_DEP_1) | instskip(NEXT) | instid1(VALU_DEP_1)
	v_add_co_u32 v35, s17, v33, v35
	v_add_co_ci_u32_e64 v36, null, v34, v36, s17
	.loc	1 74 25                         ; persistent_matmul.py:74:25
	global_store_b16 v[35:36], v32, off
	s_or_b32 exec_lo, exec_lo, s29
	.loc	1 69 43                         ; persistent_matmul.py:69:43
	s_and_b32 s17, s16, s6
	s_delay_alu instid0(SALU_CYCLE_1)
	.loc	1 74 25                         ; persistent_matmul.py:74:25
	s_and_saveexec_b32 s29, s17
	s_cbranch_execz .LBB0_526
.LBB0_575:                              ;   in Loop: Header=BB0_486 Depth=1
	.loc	1 68 56                         ; persistent_matmul.py:68:56
	v_lshlrev_b64 v[35:36], 1, v[14:15]
	s_delay_alu instid0(VALU_DEP_1) | instskip(NEXT) | instid1(VALU_DEP_1)
	v_add_co_u32 v35, s17, v33, v35
	v_add_co_ci_u32_e64 v36, null, v34, v36, s17
	.loc	1 74 25                         ; persistent_matmul.py:74:25
	global_store_b16 v[35:36], v32, off
	s_or_b32 exec_lo, exec_lo, s29
	.loc	1 69 43                         ; persistent_matmul.py:69:43
	s_and_b32 s17, s16, s7
	s_delay_alu instid0(SALU_CYCLE_1)
	.loc	1 74 25                         ; persistent_matmul.py:74:25
	s_and_saveexec_b32 s29, s17
	s_cbranch_execz .LBB0_527
.LBB0_576:                              ;   in Loop: Header=BB0_486 Depth=1
	.loc	1 68 56                         ; persistent_matmul.py:68:56
	v_lshlrev_b64 v[35:36], 1, v[16:17]
	s_delay_alu instid0(VALU_DEP_1) | instskip(NEXT) | instid1(VALU_DEP_1)
	v_add_co_u32 v35, s17, v33, v35
	v_add_co_ci_u32_e64 v36, null, v34, v36, s17
	.loc	1 74 25                         ; persistent_matmul.py:74:25
	global_store_b16 v[35:36], v32, off
	s_or_b32 exec_lo, exec_lo, s29
	.loc	1 69 43                         ; persistent_matmul.py:69:43
	s_and_b32 s17, s16, s8
	s_delay_alu instid0(SALU_CYCLE_1)
	.loc	1 74 25                         ; persistent_matmul.py:74:25
	s_and_saveexec_b32 s29, s17
	s_cbranch_execz .LBB0_528
.LBB0_577:                              ;   in Loop: Header=BB0_486 Depth=1
	.loc	1 68 56                         ; persistent_matmul.py:68:56
	v_lshlrev_b64 v[35:36], 1, v[18:19]
	s_delay_alu instid0(VALU_DEP_1) | instskip(NEXT) | instid1(VALU_DEP_1)
	v_add_co_u32 v35, s17, v33, v35
	v_add_co_ci_u32_e64 v36, null, v34, v36, s17
	.loc	1 74 25                         ; persistent_matmul.py:74:25
	global_store_b16 v[35:36], v32, off
	s_or_b32 exec_lo, exec_lo, s29
	.loc	1 69 43                         ; persistent_matmul.py:69:43
	s_and_b32 s17, s16, s9
	s_delay_alu instid0(SALU_CYCLE_1)
	.loc	1 74 25                         ; persistent_matmul.py:74:25
	s_and_saveexec_b32 s29, s17
	s_cbranch_execz .LBB0_529
.LBB0_578:                              ;   in Loop: Header=BB0_486 Depth=1
	.loc	1 68 56                         ; persistent_matmul.py:68:56
	v_lshlrev_b64 v[35:36], 1, v[20:21]
	s_delay_alu instid0(VALU_DEP_1) | instskip(NEXT) | instid1(VALU_DEP_1)
	v_add_co_u32 v35, s17, v33, v35
	v_add_co_ci_u32_e64 v36, null, v34, v36, s17
	.loc	1 74 25                         ; persistent_matmul.py:74:25
	global_store_b16 v[35:36], v32, off
	s_or_b32 exec_lo, exec_lo, s29
	.loc	1 69 43                         ; persistent_matmul.py:69:43
	s_and_b32 s17, s16, s10
	s_delay_alu instid0(SALU_CYCLE_1)
	.loc	1 74 25                         ; persistent_matmul.py:74:25
	s_and_saveexec_b32 s29, s17
	s_cbranch_execz .LBB0_530
.LBB0_579:                              ;   in Loop: Header=BB0_486 Depth=1
	.loc	1 68 56                         ; persistent_matmul.py:68:56
	v_lshlrev_b64 v[35:36], 1, v[22:23]
	s_delay_alu instid0(VALU_DEP_1) | instskip(NEXT) | instid1(VALU_DEP_1)
	v_add_co_u32 v35, s17, v33, v35
	v_add_co_ci_u32_e64 v36, null, v34, v36, s17
	.loc	1 74 25                         ; persistent_matmul.py:74:25
	global_store_b16 v[35:36], v32, off
	s_or_b32 exec_lo, exec_lo, s29
	.loc	1 69 43                         ; persistent_matmul.py:69:43
	s_and_b32 s17, s16, s11
	s_delay_alu instid0(SALU_CYCLE_1)
	.loc	1 74 25                         ; persistent_matmul.py:74:25
	s_and_saveexec_b32 s29, s17
	s_cbranch_execz .LBB0_531
.LBB0_580:                              ;   in Loop: Header=BB0_486 Depth=1
	.loc	1 68 56                         ; persistent_matmul.py:68:56
	v_lshlrev_b64 v[35:36], 1, v[24:25]
	s_delay_alu instid0(VALU_DEP_1) | instskip(NEXT) | instid1(VALU_DEP_1)
	v_add_co_u32 v35, s17, v33, v35
	v_add_co_ci_u32_e64 v36, null, v34, v36, s17
	.loc	1 74 25                         ; persistent_matmul.py:74:25
	global_store_b16 v[35:36], v32, off
	s_or_b32 exec_lo, exec_lo, s29
	.loc	1 69 43                         ; persistent_matmul.py:69:43
	s_and_b32 s17, s16, s12
	s_delay_alu instid0(SALU_CYCLE_1)
	.loc	1 74 25                         ; persistent_matmul.py:74:25
	s_and_saveexec_b32 s29, s17
	s_cbranch_execz .LBB0_532
.LBB0_581:                              ;   in Loop: Header=BB0_486 Depth=1
	.loc	1 68 56                         ; persistent_matmul.py:68:56
	v_lshlrev_b64 v[35:36], 1, v[26:27]
	s_delay_alu instid0(VALU_DEP_1) | instskip(NEXT) | instid1(VALU_DEP_1)
	v_add_co_u32 v35, s17, v33, v35
	v_add_co_ci_u32_e64 v36, null, v34, v36, s17
	.loc	1 74 25                         ; persistent_matmul.py:74:25
	global_store_b16 v[35:36], v32, off
	s_or_b32 exec_lo, exec_lo, s29
	.loc	1 69 43                         ; persistent_matmul.py:69:43
	s_and_b32 s17, s16, s13
	s_delay_alu instid0(SALU_CYCLE_1)
	.loc	1 74 25                         ; persistent_matmul.py:74:25
	s_and_saveexec_b32 s29, s17
	s_cbranch_execz .LBB0_533
.LBB0_582:                              ;   in Loop: Header=BB0_486 Depth=1
	.loc	1 68 56                         ; persistent_matmul.py:68:56
	v_lshlrev_b64 v[35:36], 1, v[28:29]
	s_delay_alu instid0(VALU_DEP_1) | instskip(NEXT) | instid1(VALU_DEP_1)
	v_add_co_u32 v35, s17, v33, v35
	v_add_co_ci_u32_e64 v36, null, v34, v36, s17
	.loc	1 74 25                         ; persistent_matmul.py:74:25
	global_store_b16 v[35:36], v32, off
	s_or_b32 exec_lo, exec_lo, s29
	.loc	1 69 43                         ; persistent_matmul.py:69:43
	s_and_b32 s16, s16, s14
	s_delay_alu instid0(SALU_CYCLE_1)
	.loc	1 74 25                         ; persistent_matmul.py:74:25
	s_and_saveexec_b32 s17, s16
	s_cbranch_execnz .LBB0_534
	s_branch .LBB0_535
.LBB0_583:                              ;   in Loop: Header=BB0_486 Depth=1
	.loc	1 68 56                         ; persistent_matmul.py:68:56
	v_lshlrev_b64 v[35:36], 1, v[0:1]
	s_delay_alu instid0(VALU_DEP_1) | instskip(NEXT) | instid1(VALU_DEP_1)
	v_add_co_u32 v35, s17, v33, v35
	v_add_co_ci_u32_e64 v36, null, v34, v36, s17
	.loc	1 74 25                         ; persistent_matmul.py:74:25
	global_store_b16 v[35:36], v32, off
	s_or_b32 exec_lo, exec_lo, s29
	.loc	1 69 43                         ; persistent_matmul.py:69:43
	s_and_b32 s17, s16, s0
	s_delay_alu instid0(SALU_CYCLE_1)
	.loc	1 74 25                         ; persistent_matmul.py:74:25
	s_and_saveexec_b32 s29, s17
	s_cbranch_execz .LBB0_537
.LBB0_584:                              ;   in Loop: Header=BB0_486 Depth=1
	.loc	1 68 56                         ; persistent_matmul.py:68:56
	v_lshlrev_b64 v[35:36], 1, v[2:3]
	s_delay_alu instid0(VALU_DEP_1) | instskip(NEXT) | instid1(VALU_DEP_1)
	v_add_co_u32 v35, s17, v33, v35
	v_add_co_ci_u32_e64 v36, null, v34, v36, s17
	.loc	1 74 25                         ; persistent_matmul.py:74:25
	global_store_b16 v[35:36], v32, off
	s_or_b32 exec_lo, exec_lo, s29
	.loc	1 69 43                         ; persistent_matmul.py:69:43
	s_and_b32 s17, s16, s1
	s_delay_alu instid0(SALU_CYCLE_1)
	.loc	1 74 25                         ; persistent_matmul.py:74:25
	s_and_saveexec_b32 s29, s17
	s_cbranch_execz .LBB0_538
.LBB0_585:                              ;   in Loop: Header=BB0_486 Depth=1
	.loc	1 68 56                         ; persistent_matmul.py:68:56
	v_lshlrev_b64 v[35:36], 1, v[4:5]
	s_delay_alu instid0(VALU_DEP_1) | instskip(NEXT) | instid1(VALU_DEP_1)
	v_add_co_u32 v35, s17, v33, v35
	v_add_co_ci_u32_e64 v36, null, v34, v36, s17
	.loc	1 74 25                         ; persistent_matmul.py:74:25
	global_store_b16 v[35:36], v32, off
	s_or_b32 exec_lo, exec_lo, s29
	.loc	1 69 43                         ; persistent_matmul.py:69:43
	s_and_b32 s17, s16, s2
	s_delay_alu instid0(SALU_CYCLE_1)
	.loc	1 74 25                         ; persistent_matmul.py:74:25
	s_and_saveexec_b32 s29, s17
	s_cbranch_execz .LBB0_539
.LBB0_586:                              ;   in Loop: Header=BB0_486 Depth=1
	.loc	1 68 56                         ; persistent_matmul.py:68:56
	v_lshlrev_b64 v[35:36], 1, v[6:7]
	s_delay_alu instid0(VALU_DEP_1) | instskip(NEXT) | instid1(VALU_DEP_1)
	v_add_co_u32 v35, s17, v33, v35
	v_add_co_ci_u32_e64 v36, null, v34, v36, s17
	.loc	1 74 25                         ; persistent_matmul.py:74:25
	global_store_b16 v[35:36], v32, off
	s_or_b32 exec_lo, exec_lo, s29
	.loc	1 69 43                         ; persistent_matmul.py:69:43
	s_and_b32 s17, s16, s3
	s_delay_alu instid0(SALU_CYCLE_1)
	.loc	1 74 25                         ; persistent_matmul.py:74:25
	s_and_saveexec_b32 s29, s17
	s_cbranch_execz .LBB0_540
.LBB0_587:                              ;   in Loop: Header=BB0_486 Depth=1
	.loc	1 68 56                         ; persistent_matmul.py:68:56
	v_lshlrev_b64 v[35:36], 1, v[8:9]
	s_delay_alu instid0(VALU_DEP_1) | instskip(NEXT) | instid1(VALU_DEP_1)
	v_add_co_u32 v35, s17, v33, v35
	v_add_co_ci_u32_e64 v36, null, v34, v36, s17
	.loc	1 74 25                         ; persistent_matmul.py:74:25
	global_store_b16 v[35:36], v32, off
	s_or_b32 exec_lo, exec_lo, s29
	.loc	1 69 43                         ; persistent_matmul.py:69:43
	s_and_b32 s17, s16, s4
	s_delay_alu instid0(SALU_CYCLE_1)
	.loc	1 74 25                         ; persistent_matmul.py:74:25
	s_and_saveexec_b32 s29, s17
	s_cbranch_execz .LBB0_541
.LBB0_588:                              ;   in Loop: Header=BB0_486 Depth=1
	.loc	1 68 56                         ; persistent_matmul.py:68:56
	v_lshlrev_b64 v[35:36], 1, v[10:11]
	s_delay_alu instid0(VALU_DEP_1) | instskip(NEXT) | instid1(VALU_DEP_1)
	v_add_co_u32 v35, s17, v33, v35
	v_add_co_ci_u32_e64 v36, null, v34, v36, s17
	.loc	1 74 25                         ; persistent_matmul.py:74:25
	global_store_b16 v[35:36], v32, off
	s_or_b32 exec_lo, exec_lo, s29
	.loc	1 69 43                         ; persistent_matmul.py:69:43
	s_and_b32 s17, s16, s5
	s_delay_alu instid0(SALU_CYCLE_1)
	.loc	1 74 25                         ; persistent_matmul.py:74:25
	s_and_saveexec_b32 s29, s17
	s_cbranch_execz .LBB0_542
.LBB0_589:                              ;   in Loop: Header=BB0_486 Depth=1
	.loc	1 68 56                         ; persistent_matmul.py:68:56
	v_lshlrev_b64 v[35:36], 1, v[12:13]
	s_delay_alu instid0(VALU_DEP_1) | instskip(NEXT) | instid1(VALU_DEP_1)
	v_add_co_u32 v35, s17, v33, v35
	v_add_co_ci_u32_e64 v36, null, v34, v36, s17
	.loc	1 74 25                         ; persistent_matmul.py:74:25
	global_store_b16 v[35:36], v32, off
	s_or_b32 exec_lo, exec_lo, s29
	.loc	1 69 43                         ; persistent_matmul.py:69:43
	s_and_b32 s17, s16, s6
	s_delay_alu instid0(SALU_CYCLE_1)
	.loc	1 74 25                         ; persistent_matmul.py:74:25
	s_and_saveexec_b32 s29, s17
	s_cbranch_execz .LBB0_543
.LBB0_590:                              ;   in Loop: Header=BB0_486 Depth=1
	.loc	1 68 56                         ; persistent_matmul.py:68:56
	v_lshlrev_b64 v[35:36], 1, v[14:15]
	s_delay_alu instid0(VALU_DEP_1) | instskip(NEXT) | instid1(VALU_DEP_1)
	v_add_co_u32 v35, s17, v33, v35
	v_add_co_ci_u32_e64 v36, null, v34, v36, s17
	.loc	1 74 25                         ; persistent_matmul.py:74:25
	global_store_b16 v[35:36], v32, off
	s_or_b32 exec_lo, exec_lo, s29
	.loc	1 69 43                         ; persistent_matmul.py:69:43
	s_and_b32 s17, s16, s7
	s_delay_alu instid0(SALU_CYCLE_1)
	.loc	1 74 25                         ; persistent_matmul.py:74:25
	s_and_saveexec_b32 s29, s17
	s_cbranch_execz .LBB0_544
.LBB0_591:                              ;   in Loop: Header=BB0_486 Depth=1
	.loc	1 68 56                         ; persistent_matmul.py:68:56
	v_lshlrev_b64 v[35:36], 1, v[16:17]
	s_delay_alu instid0(VALU_DEP_1) | instskip(NEXT) | instid1(VALU_DEP_1)
	v_add_co_u32 v35, s17, v33, v35
	v_add_co_ci_u32_e64 v36, null, v34, v36, s17
	.loc	1 74 25                         ; persistent_matmul.py:74:25
	global_store_b16 v[35:36], v32, off
	s_or_b32 exec_lo, exec_lo, s29
	.loc	1 69 43                         ; persistent_matmul.py:69:43
	s_and_b32 s17, s16, s8
	s_delay_alu instid0(SALU_CYCLE_1)
	.loc	1 74 25                         ; persistent_matmul.py:74:25
	s_and_saveexec_b32 s29, s17
	s_cbranch_execz .LBB0_545
.LBB0_592:                              ;   in Loop: Header=BB0_486 Depth=1
	.loc	1 68 56                         ; persistent_matmul.py:68:56
	v_lshlrev_b64 v[35:36], 1, v[18:19]
	s_delay_alu instid0(VALU_DEP_1) | instskip(NEXT) | instid1(VALU_DEP_1)
	v_add_co_u32 v35, s17, v33, v35
	v_add_co_ci_u32_e64 v36, null, v34, v36, s17
	.loc	1 74 25                         ; persistent_matmul.py:74:25
	global_store_b16 v[35:36], v32, off
	s_or_b32 exec_lo, exec_lo, s29
	.loc	1 69 43                         ; persistent_matmul.py:69:43
	s_and_b32 s17, s16, s9
	s_delay_alu instid0(SALU_CYCLE_1)
	.loc	1 74 25                         ; persistent_matmul.py:74:25
	s_and_saveexec_b32 s29, s17
	s_cbranch_execz .LBB0_546
.LBB0_593:                              ;   in Loop: Header=BB0_486 Depth=1
	.loc	1 68 56                         ; persistent_matmul.py:68:56
	v_lshlrev_b64 v[35:36], 1, v[20:21]
	s_delay_alu instid0(VALU_DEP_1) | instskip(NEXT) | instid1(VALU_DEP_1)
	v_add_co_u32 v35, s17, v33, v35
	v_add_co_ci_u32_e64 v36, null, v34, v36, s17
	.loc	1 74 25                         ; persistent_matmul.py:74:25
	global_store_b16 v[35:36], v32, off
	s_or_b32 exec_lo, exec_lo, s29
	.loc	1 69 43                         ; persistent_matmul.py:69:43
	s_and_b32 s17, s16, s10
	s_delay_alu instid0(SALU_CYCLE_1)
	.loc	1 74 25                         ; persistent_matmul.py:74:25
	s_and_saveexec_b32 s29, s17
	s_cbranch_execz .LBB0_547
.LBB0_594:                              ;   in Loop: Header=BB0_486 Depth=1
	.loc	1 68 56                         ; persistent_matmul.py:68:56
	v_lshlrev_b64 v[35:36], 1, v[22:23]
	s_delay_alu instid0(VALU_DEP_1) | instskip(NEXT) | instid1(VALU_DEP_1)
	v_add_co_u32 v35, s17, v33, v35
	v_add_co_ci_u32_e64 v36, null, v34, v36, s17
	.loc	1 74 25                         ; persistent_matmul.py:74:25
	global_store_b16 v[35:36], v32, off
	s_or_b32 exec_lo, exec_lo, s29
	.loc	1 69 43                         ; persistent_matmul.py:69:43
	s_and_b32 s17, s16, s11
	s_delay_alu instid0(SALU_CYCLE_1)
	.loc	1 74 25                         ; persistent_matmul.py:74:25
	s_and_saveexec_b32 s29, s17
	s_cbranch_execz .LBB0_548
.LBB0_595:                              ;   in Loop: Header=BB0_486 Depth=1
	.loc	1 68 56                         ; persistent_matmul.py:68:56
	v_lshlrev_b64 v[35:36], 1, v[24:25]
	s_delay_alu instid0(VALU_DEP_1) | instskip(NEXT) | instid1(VALU_DEP_1)
	v_add_co_u32 v35, s17, v33, v35
	v_add_co_ci_u32_e64 v36, null, v34, v36, s17
	.loc	1 74 25                         ; persistent_matmul.py:74:25
	global_store_b16 v[35:36], v32, off
	s_or_b32 exec_lo, exec_lo, s29
	.loc	1 69 43                         ; persistent_matmul.py:69:43
	s_and_b32 s17, s16, s12
	s_delay_alu instid0(SALU_CYCLE_1)
	.loc	1 74 25                         ; persistent_matmul.py:74:25
	s_and_saveexec_b32 s29, s17
	s_cbranch_execz .LBB0_549
.LBB0_596:                              ;   in Loop: Header=BB0_486 Depth=1
	.loc	1 68 56                         ; persistent_matmul.py:68:56
	v_lshlrev_b64 v[35:36], 1, v[26:27]
	s_delay_alu instid0(VALU_DEP_1) | instskip(NEXT) | instid1(VALU_DEP_1)
	v_add_co_u32 v35, s17, v33, v35
	v_add_co_ci_u32_e64 v36, null, v34, v36, s17
	.loc	1 74 25                         ; persistent_matmul.py:74:25
	global_store_b16 v[35:36], v32, off
	s_or_b32 exec_lo, exec_lo, s29
	.loc	1 69 43                         ; persistent_matmul.py:69:43
	s_and_b32 s17, s16, s13
	s_delay_alu instid0(SALU_CYCLE_1)
	.loc	1 74 25                         ; persistent_matmul.py:74:25
	s_and_saveexec_b32 s29, s17
	s_cbranch_execz .LBB0_550
.LBB0_597:                              ;   in Loop: Header=BB0_486 Depth=1
	.loc	1 68 56                         ; persistent_matmul.py:68:56
	v_lshlrev_b64 v[35:36], 1, v[28:29]
	s_delay_alu instid0(VALU_DEP_1) | instskip(NEXT) | instid1(VALU_DEP_1)
	v_add_co_u32 v35, s17, v33, v35
	v_add_co_ci_u32_e64 v36, null, v34, v36, s17
	.loc	1 74 25                         ; persistent_matmul.py:74:25
	global_store_b16 v[35:36], v32, off
	s_or_b32 exec_lo, exec_lo, s29
	.loc	1 69 43                         ; persistent_matmul.py:69:43
	s_and_b32 s16, s16, s14
	s_delay_alu instid0(SALU_CYCLE_1)
	.loc	1 74 25                         ; persistent_matmul.py:74:25
	s_and_saveexec_b32 s17, s16
	s_cbranch_execnz .LBB0_551
	s_branch .LBB0_552
.LBB0_598:                              ;   in Loop: Header=BB0_486 Depth=1
	.loc	1 68 56                         ; persistent_matmul.py:68:56
	v_lshlrev_b64 v[0:1], 1, v[0:1]
	s_delay_alu instid0(VALU_DEP_1) | instskip(NEXT) | instid1(VALU_DEP_1)
	v_add_co_u32 v0, vcc_lo, v33, v0
	v_add_co_ci_u32_e64 v1, null, v34, v1, vcc_lo
	.loc	1 74 25                         ; persistent_matmul.py:74:25
	global_store_b16 v[0:1], v32, off
	s_or_b32 exec_lo, exec_lo, s17
	.loc	1 69 43                         ; persistent_matmul.py:69:43
	s_and_b32 s17, s16, s0
	s_delay_alu instid0(SALU_CYCLE_1)
	.loc	1 74 25                         ; persistent_matmul.py:74:25
	s_and_saveexec_b32 s0, s17
	s_cbranch_execz .LBB0_554
.LBB0_599:                              ;   in Loop: Header=BB0_486 Depth=1
	.loc	1 68 56                         ; persistent_matmul.py:68:56
	v_lshlrev_b64 v[0:1], 1, v[2:3]
	s_delay_alu instid0(VALU_DEP_1) | instskip(NEXT) | instid1(VALU_DEP_1)
	v_add_co_u32 v0, vcc_lo, v33, v0
	v_add_co_ci_u32_e64 v1, null, v34, v1, vcc_lo
	.loc	1 74 25                         ; persistent_matmul.py:74:25
	global_store_b16 v[0:1], v32, off
	s_or_b32 exec_lo, exec_lo, s0
	.loc	1 69 43                         ; persistent_matmul.py:69:43
	s_and_b32 s1, s16, s1
	s_delay_alu instid0(SALU_CYCLE_1)
	.loc	1 74 25                         ; persistent_matmul.py:74:25
	s_and_saveexec_b32 s0, s1
	s_cbranch_execz .LBB0_555
.LBB0_600:                              ;   in Loop: Header=BB0_486 Depth=1
	.loc	1 68 56                         ; persistent_matmul.py:68:56
	v_lshlrev_b64 v[0:1], 1, v[4:5]
	s_delay_alu instid0(VALU_DEP_1) | instskip(NEXT) | instid1(VALU_DEP_1)
	v_add_co_u32 v0, vcc_lo, v33, v0
	v_add_co_ci_u32_e64 v1, null, v34, v1, vcc_lo
	.loc	1 74 25                         ; persistent_matmul.py:74:25
	global_store_b16 v[0:1], v32, off
	s_or_b32 exec_lo, exec_lo, s0
	.loc	1 69 43                         ; persistent_matmul.py:69:43
	s_and_b32 s1, s16, s2
	s_delay_alu instid0(SALU_CYCLE_1)
	.loc	1 74 25                         ; persistent_matmul.py:74:25
	s_and_saveexec_b32 s0, s1
	s_cbranch_execz .LBB0_556
.LBB0_601:                              ;   in Loop: Header=BB0_486 Depth=1
	.loc	1 68 56                         ; persistent_matmul.py:68:56
	v_lshlrev_b64 v[0:1], 1, v[6:7]
	s_delay_alu instid0(VALU_DEP_1) | instskip(NEXT) | instid1(VALU_DEP_1)
	v_add_co_u32 v0, vcc_lo, v33, v0
	v_add_co_ci_u32_e64 v1, null, v34, v1, vcc_lo
	.loc	1 74 25                         ; persistent_matmul.py:74:25
	global_store_b16 v[0:1], v32, off
	s_or_b32 exec_lo, exec_lo, s0
	.loc	1 69 43                         ; persistent_matmul.py:69:43
	s_and_b32 s1, s16, s3
	s_delay_alu instid0(SALU_CYCLE_1)
	.loc	1 74 25                         ; persistent_matmul.py:74:25
	s_and_saveexec_b32 s0, s1
	s_cbranch_execz .LBB0_557
.LBB0_602:                              ;   in Loop: Header=BB0_486 Depth=1
	.loc	1 68 56                         ; persistent_matmul.py:68:56
	v_lshlrev_b64 v[0:1], 1, v[8:9]
	s_delay_alu instid0(VALU_DEP_1) | instskip(NEXT) | instid1(VALU_DEP_1)
	v_add_co_u32 v0, vcc_lo, v33, v0
	v_add_co_ci_u32_e64 v1, null, v34, v1, vcc_lo
	.loc	1 74 25                         ; persistent_matmul.py:74:25
	global_store_b16 v[0:1], v32, off
	s_or_b32 exec_lo, exec_lo, s0
	.loc	1 69 43                         ; persistent_matmul.py:69:43
	s_and_b32 s1, s16, s4
	s_delay_alu instid0(SALU_CYCLE_1)
	.loc	1 74 25                         ; persistent_matmul.py:74:25
	s_and_saveexec_b32 s0, s1
	s_cbranch_execz .LBB0_558
.LBB0_603:                              ;   in Loop: Header=BB0_486 Depth=1
	.loc	1 68 56                         ; persistent_matmul.py:68:56
	v_lshlrev_b64 v[0:1], 1, v[10:11]
	s_delay_alu instid0(VALU_DEP_1) | instskip(NEXT) | instid1(VALU_DEP_1)
	v_add_co_u32 v0, vcc_lo, v33, v0
	v_add_co_ci_u32_e64 v1, null, v34, v1, vcc_lo
	.loc	1 74 25                         ; persistent_matmul.py:74:25
	global_store_b16 v[0:1], v32, off
	s_or_b32 exec_lo, exec_lo, s0
	.loc	1 69 43                         ; persistent_matmul.py:69:43
	s_and_b32 s1, s16, s5
	s_delay_alu instid0(SALU_CYCLE_1)
	.loc	1 74 25                         ; persistent_matmul.py:74:25
	s_and_saveexec_b32 s0, s1
	s_cbranch_execz .LBB0_559
.LBB0_604:                              ;   in Loop: Header=BB0_486 Depth=1
	.loc	1 68 56                         ; persistent_matmul.py:68:56
	v_lshlrev_b64 v[0:1], 1, v[12:13]
	s_delay_alu instid0(VALU_DEP_1) | instskip(NEXT) | instid1(VALU_DEP_1)
	v_add_co_u32 v0, vcc_lo, v33, v0
	v_add_co_ci_u32_e64 v1, null, v34, v1, vcc_lo
	.loc	1 74 25                         ; persistent_matmul.py:74:25
	global_store_b16 v[0:1], v32, off
	s_or_b32 exec_lo, exec_lo, s0
	.loc	1 69 43                         ; persistent_matmul.py:69:43
	s_and_b32 s1, s16, s6
	s_delay_alu instid0(SALU_CYCLE_1)
	.loc	1 74 25                         ; persistent_matmul.py:74:25
	s_and_saveexec_b32 s0, s1
	s_cbranch_execz .LBB0_560
.LBB0_605:                              ;   in Loop: Header=BB0_486 Depth=1
	.loc	1 68 56                         ; persistent_matmul.py:68:56
	v_lshlrev_b64 v[0:1], 1, v[14:15]
	s_delay_alu instid0(VALU_DEP_1) | instskip(NEXT) | instid1(VALU_DEP_1)
	v_add_co_u32 v0, vcc_lo, v33, v0
	v_add_co_ci_u32_e64 v1, null, v34, v1, vcc_lo
	.loc	1 74 25                         ; persistent_matmul.py:74:25
	global_store_b16 v[0:1], v32, off
	s_or_b32 exec_lo, exec_lo, s0
	.loc	1 69 43                         ; persistent_matmul.py:69:43
	s_and_b32 s1, s16, s7
	s_delay_alu instid0(SALU_CYCLE_1)
	.loc	1 74 25                         ; persistent_matmul.py:74:25
	s_and_saveexec_b32 s0, s1
	s_cbranch_execz .LBB0_561
.LBB0_606:                              ;   in Loop: Header=BB0_486 Depth=1
	.loc	1 68 56                         ; persistent_matmul.py:68:56
	v_lshlrev_b64 v[0:1], 1, v[16:17]
	s_delay_alu instid0(VALU_DEP_1) | instskip(NEXT) | instid1(VALU_DEP_1)
	v_add_co_u32 v0, vcc_lo, v33, v0
	v_add_co_ci_u32_e64 v1, null, v34, v1, vcc_lo
	.loc	1 74 25                         ; persistent_matmul.py:74:25
	global_store_b16 v[0:1], v32, off
	s_or_b32 exec_lo, exec_lo, s0
	.loc	1 69 43                         ; persistent_matmul.py:69:43
	s_and_b32 s1, s16, s8
	s_delay_alu instid0(SALU_CYCLE_1)
	.loc	1 74 25                         ; persistent_matmul.py:74:25
	s_and_saveexec_b32 s0, s1
	s_cbranch_execz .LBB0_562
.LBB0_607:                              ;   in Loop: Header=BB0_486 Depth=1
	.loc	1 68 56                         ; persistent_matmul.py:68:56
	v_lshlrev_b64 v[0:1], 1, v[18:19]
	s_delay_alu instid0(VALU_DEP_1) | instskip(NEXT) | instid1(VALU_DEP_1)
	v_add_co_u32 v0, vcc_lo, v33, v0
	v_add_co_ci_u32_e64 v1, null, v34, v1, vcc_lo
	.loc	1 74 25                         ; persistent_matmul.py:74:25
	global_store_b16 v[0:1], v32, off
	s_or_b32 exec_lo, exec_lo, s0
	.loc	1 69 43                         ; persistent_matmul.py:69:43
	s_and_b32 s1, s16, s9
	s_delay_alu instid0(SALU_CYCLE_1)
	.loc	1 74 25                         ; persistent_matmul.py:74:25
	s_and_saveexec_b32 s0, s1
	s_cbranch_execz .LBB0_563
.LBB0_608:                              ;   in Loop: Header=BB0_486 Depth=1
	.loc	1 68 56                         ; persistent_matmul.py:68:56
	v_lshlrev_b64 v[0:1], 1, v[20:21]
	s_delay_alu instid0(VALU_DEP_1) | instskip(NEXT) | instid1(VALU_DEP_1)
	v_add_co_u32 v0, vcc_lo, v33, v0
	v_add_co_ci_u32_e64 v1, null, v34, v1, vcc_lo
	.loc	1 74 25                         ; persistent_matmul.py:74:25
	global_store_b16 v[0:1], v32, off
	s_or_b32 exec_lo, exec_lo, s0
	.loc	1 69 43                         ; persistent_matmul.py:69:43
	s_and_b32 s1, s16, s10
	s_delay_alu instid0(SALU_CYCLE_1)
	.loc	1 74 25                         ; persistent_matmul.py:74:25
	s_and_saveexec_b32 s0, s1
	s_cbranch_execz .LBB0_564
.LBB0_609:                              ;   in Loop: Header=BB0_486 Depth=1
	.loc	1 68 56                         ; persistent_matmul.py:68:56
	v_lshlrev_b64 v[0:1], 1, v[22:23]
	s_delay_alu instid0(VALU_DEP_1) | instskip(NEXT) | instid1(VALU_DEP_1)
	v_add_co_u32 v0, vcc_lo, v33, v0
	v_add_co_ci_u32_e64 v1, null, v34, v1, vcc_lo
	.loc	1 74 25                         ; persistent_matmul.py:74:25
	global_store_b16 v[0:1], v32, off
	s_or_b32 exec_lo, exec_lo, s0
	.loc	1 69 43                         ; persistent_matmul.py:69:43
	s_and_b32 s1, s16, s11
	s_delay_alu instid0(SALU_CYCLE_1)
	.loc	1 74 25                         ; persistent_matmul.py:74:25
	s_and_saveexec_b32 s0, s1
	s_cbranch_execz .LBB0_565
.LBB0_610:                              ;   in Loop: Header=BB0_486 Depth=1
	.loc	1 68 56                         ; persistent_matmul.py:68:56
	v_lshlrev_b64 v[0:1], 1, v[24:25]
	s_delay_alu instid0(VALU_DEP_1) | instskip(NEXT) | instid1(VALU_DEP_1)
	v_add_co_u32 v0, vcc_lo, v33, v0
	v_add_co_ci_u32_e64 v1, null, v34, v1, vcc_lo
	.loc	1 74 25                         ; persistent_matmul.py:74:25
	global_store_b16 v[0:1], v32, off
	s_or_b32 exec_lo, exec_lo, s0
	.loc	1 69 43                         ; persistent_matmul.py:69:43
	s_and_b32 s1, s16, s12
	s_delay_alu instid0(SALU_CYCLE_1)
	.loc	1 74 25                         ; persistent_matmul.py:74:25
	s_and_saveexec_b32 s0, s1
	s_cbranch_execz .LBB0_566
.LBB0_611:                              ;   in Loop: Header=BB0_486 Depth=1
	.loc	1 68 56                         ; persistent_matmul.py:68:56
	v_lshlrev_b64 v[0:1], 1, v[26:27]
	s_delay_alu instid0(VALU_DEP_1) | instskip(NEXT) | instid1(VALU_DEP_1)
	v_add_co_u32 v0, vcc_lo, v33, v0
	v_add_co_ci_u32_e64 v1, null, v34, v1, vcc_lo
	.loc	1 74 25                         ; persistent_matmul.py:74:25
	global_store_b16 v[0:1], v32, off
	s_or_b32 exec_lo, exec_lo, s0
	.loc	1 69 43                         ; persistent_matmul.py:69:43
	s_and_b32 s1, s16, s13
	s_delay_alu instid0(SALU_CYCLE_1)
	.loc	1 74 25                         ; persistent_matmul.py:74:25
	s_and_saveexec_b32 s0, s1
	s_cbranch_execz .LBB0_567
.LBB0_612:                              ;   in Loop: Header=BB0_486 Depth=1
	.loc	1 68 56                         ; persistent_matmul.py:68:56
	v_lshlrev_b64 v[0:1], 1, v[28:29]
	s_delay_alu instid0(VALU_DEP_1) | instskip(NEXT) | instid1(VALU_DEP_1)
	v_add_co_u32 v0, vcc_lo, v33, v0
	v_add_co_ci_u32_e64 v1, null, v34, v1, vcc_lo
	.loc	1 74 25                         ; persistent_matmul.py:74:25
	global_store_b16 v[0:1], v32, off
	s_or_b32 exec_lo, exec_lo, s0
	.loc	1 69 43                         ; persistent_matmul.py:69:43
	s_and_b32 s1, s16, s14
	s_delay_alu instid0(SALU_CYCLE_1)
	.loc	1 74 25                         ; persistent_matmul.py:74:25
	s_and_saveexec_b32 s0, s1
	s_cbranch_execz .LBB0_485
.LBB0_613:                              ;   in Loop: Header=BB0_486 Depth=1
	.loc	1 68 56                         ; persistent_matmul.py:68:56
	v_lshlrev_b64 v[0:1], 1, v[30:31]
	s_delay_alu instid0(VALU_DEP_1) | instskip(NEXT) | instid1(VALU_DEP_1)
	v_add_co_u32 v0, vcc_lo, v33, v0
	v_add_co_ci_u32_e64 v1, null, v34, v1, vcc_lo
	.loc	1 74 25                         ; persistent_matmul.py:74:25
	global_store_b16 v[0:1], v32, off
	s_branch .LBB0_485
.LBB0_614:                              ; %.loopexit
	.loc	1 43 4                          ; persistent_matmul.py:43:4
	s_endpgm
.LBB0_615:
	.loc	1 68 56                         ; persistent_matmul.py:68:56
	v_lshlrev_b64 v[82:83], 1, v[64:65]
	.loc	1 73 31                         ; persistent_matmul.py:73:31
	v_cvt_f16_f32_e32 v40, v40
	s_delay_alu instid0(VALU_DEP_2) | instskip(NEXT) | instid1(VALU_DEP_1)
	.loc	1 68 56                         ; persistent_matmul.py:68:56
	v_add_co_u32 v82, s17, v54, v82
	v_add_co_ci_u32_e64 v83, null, v55, v83, s17
	.loc	1 74 25                         ; persistent_matmul.py:74:25
	global_store_b16 v[82:83], v40, off
	s_or_b32 exec_lo, exec_lo, s25
	.loc	1 69 43                         ; persistent_matmul.py:69:43
	s_and_b32 s17, s16, s0
	s_delay_alu instid0(SALU_CYCLE_1)
	.loc	1 74 25                         ; persistent_matmul.py:74:25
	s_and_saveexec_b32 s25, s17
	s_cbranch_execz .LBB0_431
.LBB0_616:
	.loc	1 68 56                         ; persistent_matmul.py:68:56
	v_lshlrev_b64 v[82:83], 1, v[66:67]
	.loc	1 73 31                         ; persistent_matmul.py:73:31
	v_cvt_f16_f32_e32 v40, v41
	s_delay_alu instid0(VALU_DEP_2) | instskip(NEXT) | instid1(VALU_DEP_1)
	.loc	1 68 56                         ; persistent_matmul.py:68:56
	v_add_co_u32 v82, s17, v54, v82
	v_add_co_ci_u32_e64 v83, null, v55, v83, s17
	.loc	1 74 25                         ; persistent_matmul.py:74:25
	global_store_b16 v[82:83], v40, off
	s_or_b32 exec_lo, exec_lo, s25
	.loc	1 69 43                         ; persistent_matmul.py:69:43
	s_and_b32 s17, s16, s1
	s_delay_alu instid0(SALU_CYCLE_1)
	.loc	1 74 25                         ; persistent_matmul.py:74:25
	s_and_saveexec_b32 s25, s17
	s_cbranch_execz .LBB0_432
.LBB0_617:
	.loc	1 68 56                         ; persistent_matmul.py:68:56
	v_lshlrev_b64 v[40:41], 1, v[56:57]
	.loc	1 73 31                         ; persistent_matmul.py:73:31
	v_cvt_f16_f32_e32 v42, v42
	s_delay_alu instid0(VALU_DEP_2) | instskip(NEXT) | instid1(VALU_DEP_1)
	.loc	1 68 56                         ; persistent_matmul.py:68:56
	v_add_co_u32 v40, s17, v54, v40
	v_add_co_ci_u32_e64 v41, null, v55, v41, s17
	.loc	1 74 25                         ; persistent_matmul.py:74:25
	global_store_b16 v[40:41], v42, off
	s_or_b32 exec_lo, exec_lo, s25
	.loc	1 69 43                         ; persistent_matmul.py:69:43
	s_and_b32 s17, s16, s2
	s_delay_alu instid0(SALU_CYCLE_1)
	.loc	1 74 25                         ; persistent_matmul.py:74:25
	s_and_saveexec_b32 s25, s17
	s_cbranch_execz .LBB0_433
.LBB0_618:
	.loc	1 68 56                         ; persistent_matmul.py:68:56
	v_lshlrev_b64 v[40:41], 1, v[68:69]
	.loc	1 73 31                         ; persistent_matmul.py:73:31
	v_cvt_f16_f32_e32 v42, v43
	s_delay_alu instid0(VALU_DEP_2) | instskip(NEXT) | instid1(VALU_DEP_1)
	.loc	1 68 56                         ; persistent_matmul.py:68:56
	v_add_co_u32 v40, s17, v54, v40
	v_add_co_ci_u32_e64 v41, null, v55, v41, s17
	.loc	1 74 25                         ; persistent_matmul.py:74:25
	global_store_b16 v[40:41], v42, off
	s_or_b32 exec_lo, exec_lo, s25
	.loc	1 69 43                         ; persistent_matmul.py:69:43
	s_and_b32 s17, s16, s3
	s_delay_alu instid0(SALU_CYCLE_1)
	.loc	1 74 25                         ; persistent_matmul.py:74:25
	s_and_saveexec_b32 s25, s17
	s_cbranch_execz .LBB0_434
.LBB0_619:
	.loc	1 68 56                         ; persistent_matmul.py:68:56
	v_lshlrev_b64 v[40:41], 1, v[58:59]
	.loc	1 73 31                         ; persistent_matmul.py:73:31
	v_cvt_f16_f32_e32 v42, v44
	s_delay_alu instid0(VALU_DEP_2) | instskip(NEXT) | instid1(VALU_DEP_1)
	.loc	1 68 56                         ; persistent_matmul.py:68:56
	v_add_co_u32 v40, s17, v54, v40
	v_add_co_ci_u32_e64 v41, null, v55, v41, s17
	.loc	1 74 25                         ; persistent_matmul.py:74:25
	global_store_b16 v[40:41], v42, off
	s_or_b32 exec_lo, exec_lo, s25
	.loc	1 69 43                         ; persistent_matmul.py:69:43
	s_and_b32 s17, s16, s4
	s_delay_alu instid0(SALU_CYCLE_1)
	.loc	1 74 25                         ; persistent_matmul.py:74:25
	s_and_saveexec_b32 s25, s17
	s_cbranch_execz .LBB0_435
.LBB0_620:
	.loc	1 68 56                         ; persistent_matmul.py:68:56
	v_lshlrev_b64 v[40:41], 1, v[70:71]
	.loc	1 73 31                         ; persistent_matmul.py:73:31
	v_cvt_f16_f32_e32 v42, v45
	s_delay_alu instid0(VALU_DEP_2) | instskip(NEXT) | instid1(VALU_DEP_1)
	.loc	1 68 56                         ; persistent_matmul.py:68:56
	v_add_co_u32 v40, s17, v54, v40
	v_add_co_ci_u32_e64 v41, null, v55, v41, s17
	.loc	1 74 25                         ; persistent_matmul.py:74:25
	global_store_b16 v[40:41], v42, off
	s_or_b32 exec_lo, exec_lo, s25
	.loc	1 69 43                         ; persistent_matmul.py:69:43
	s_and_b32 s17, s16, s5
	s_delay_alu instid0(SALU_CYCLE_1)
	.loc	1 74 25                         ; persistent_matmul.py:74:25
	s_and_saveexec_b32 s25, s17
	s_cbranch_execz .LBB0_436
.LBB0_621:
	.loc	1 68 56                         ; persistent_matmul.py:68:56
	v_lshlrev_b64 v[40:41], 1, v[60:61]
	.loc	1 73 31                         ; persistent_matmul.py:73:31
	v_cvt_f16_f32_e32 v42, v46
	s_delay_alu instid0(VALU_DEP_2) | instskip(NEXT) | instid1(VALU_DEP_1)
	.loc	1 68 56                         ; persistent_matmul.py:68:56
	v_add_co_u32 v40, s17, v54, v40
	v_add_co_ci_u32_e64 v41, null, v55, v41, s17
	.loc	1 74 25                         ; persistent_matmul.py:74:25
	global_store_b16 v[40:41], v42, off
	s_or_b32 exec_lo, exec_lo, s25
	.loc	1 69 43                         ; persistent_matmul.py:69:43
	s_and_b32 s17, s16, s6
	s_delay_alu instid0(SALU_CYCLE_1)
	.loc	1 74 25                         ; persistent_matmul.py:74:25
	s_and_saveexec_b32 s25, s17
	s_cbranch_execz .LBB0_437
.LBB0_622:
	.loc	1 68 56                         ; persistent_matmul.py:68:56
	v_lshlrev_b64 v[40:41], 1, v[72:73]
	.loc	1 73 31                         ; persistent_matmul.py:73:31
	v_cvt_f16_f32_e32 v42, v47
	s_delay_alu instid0(VALU_DEP_2) | instskip(NEXT) | instid1(VALU_DEP_1)
	.loc	1 68 56                         ; persistent_matmul.py:68:56
	v_add_co_u32 v40, s17, v54, v40
	v_add_co_ci_u32_e64 v41, null, v55, v41, s17
	.loc	1 74 25                         ; persistent_matmul.py:74:25
	global_store_b16 v[40:41], v42, off
	s_or_b32 exec_lo, exec_lo, s25
	.loc	1 69 43                         ; persistent_matmul.py:69:43
	s_and_b32 s17, s16, s7
	s_delay_alu instid0(SALU_CYCLE_1)
	.loc	1 74 25                         ; persistent_matmul.py:74:25
	s_and_saveexec_b32 s25, s17
	s_cbranch_execz .LBB0_438
.LBB0_623:
	.loc	1 68 56                         ; persistent_matmul.py:68:56
	v_lshlrev_b64 v[40:41], 1, v[62:63]
	.loc	1 73 31                         ; persistent_matmul.py:73:31
	v_cvt_f16_f32_e32 v32, v32
	s_delay_alu instid0(VALU_DEP_2) | instskip(NEXT) | instid1(VALU_DEP_1)
	.loc	1 68 56                         ; persistent_matmul.py:68:56
	v_add_co_u32 v40, s17, v54, v40
	v_add_co_ci_u32_e64 v41, null, v55, v41, s17
	.loc	1 74 25                         ; persistent_matmul.py:74:25
	global_store_b16 v[40:41], v32, off
	s_or_b32 exec_lo, exec_lo, s25
	.loc	1 69 43                         ; persistent_matmul.py:69:43
	s_and_b32 s17, s16, s8
	s_delay_alu instid0(SALU_CYCLE_1)
	.loc	1 74 25                         ; persistent_matmul.py:74:25
	s_and_saveexec_b32 s25, s17
	s_cbranch_execz .LBB0_439
.LBB0_624:
	.loc	1 68 56                         ; persistent_matmul.py:68:56
	v_lshlrev_b64 v[40:41], 1, v[74:75]
	.loc	1 73 31                         ; persistent_matmul.py:73:31
	v_cvt_f16_f32_e32 v32, v33
	s_delay_alu instid0(VALU_DEP_2) | instskip(NEXT) | instid1(VALU_DEP_1)
	.loc	1 68 56                         ; persistent_matmul.py:68:56
	v_add_co_u32 v40, s17, v54, v40
	v_add_co_ci_u32_e64 v41, null, v55, v41, s17
	.loc	1 74 25                         ; persistent_matmul.py:74:25
	global_store_b16 v[40:41], v32, off
	s_or_b32 exec_lo, exec_lo, s25
	.loc	1 69 43                         ; persistent_matmul.py:69:43
	s_and_b32 s17, s16, s9
	s_delay_alu instid0(SALU_CYCLE_1)
	.loc	1 74 25                         ; persistent_matmul.py:74:25
	s_and_saveexec_b32 s25, s17
	s_cbranch_execz .LBB0_440
.LBB0_625:
	.loc	1 68 56                         ; persistent_matmul.py:68:56
	v_lshlrev_b64 v[32:33], 1, v[48:49]
	.loc	1 73 31                         ; persistent_matmul.py:73:31
	v_cvt_f16_f32_e32 v34, v34
	s_delay_alu instid0(VALU_DEP_2) | instskip(NEXT) | instid1(VALU_DEP_1)
	.loc	1 68 56                         ; persistent_matmul.py:68:56
	v_add_co_u32 v32, s17, v54, v32
	v_add_co_ci_u32_e64 v33, null, v55, v33, s17
	.loc	1 74 25                         ; persistent_matmul.py:74:25
	global_store_b16 v[32:33], v34, off
	s_or_b32 exec_lo, exec_lo, s25
	.loc	1 69 43                         ; persistent_matmul.py:69:43
	s_and_b32 s17, s16, s10
	s_delay_alu instid0(SALU_CYCLE_1)
	.loc	1 74 25                         ; persistent_matmul.py:74:25
	s_and_saveexec_b32 s25, s17
	s_cbranch_execz .LBB0_441
.LBB0_626:
	.loc	1 68 56                         ; persistent_matmul.py:68:56
	v_lshlrev_b64 v[32:33], 1, v[76:77]
	.loc	1 73 31                         ; persistent_matmul.py:73:31
	v_cvt_f16_f32_e32 v34, v35
	s_delay_alu instid0(VALU_DEP_2) | instskip(NEXT) | instid1(VALU_DEP_1)
	.loc	1 68 56                         ; persistent_matmul.py:68:56
	v_add_co_u32 v32, s17, v54, v32
	v_add_co_ci_u32_e64 v33, null, v55, v33, s17
	.loc	1 74 25                         ; persistent_matmul.py:74:25
	global_store_b16 v[32:33], v34, off
	s_or_b32 exec_lo, exec_lo, s25
	.loc	1 69 43                         ; persistent_matmul.py:69:43
	s_and_b32 s17, s16, s11
	s_delay_alu instid0(SALU_CYCLE_1)
	.loc	1 74 25                         ; persistent_matmul.py:74:25
	s_and_saveexec_b32 s25, s17
	s_cbranch_execz .LBB0_442
.LBB0_627:
	.loc	1 68 56                         ; persistent_matmul.py:68:56
	v_lshlrev_b64 v[32:33], 1, v[50:51]
	.loc	1 73 31                         ; persistent_matmul.py:73:31
	v_cvt_f16_f32_e32 v34, v36
	s_delay_alu instid0(VALU_DEP_2) | instskip(NEXT) | instid1(VALU_DEP_1)
	.loc	1 68 56                         ; persistent_matmul.py:68:56
	v_add_co_u32 v32, s17, v54, v32
	v_add_co_ci_u32_e64 v33, null, v55, v33, s17
	.loc	1 74 25                         ; persistent_matmul.py:74:25
	global_store_b16 v[32:33], v34, off
	s_or_b32 exec_lo, exec_lo, s25
	.loc	1 69 43                         ; persistent_matmul.py:69:43
	s_and_b32 s17, s16, s12
	s_delay_alu instid0(SALU_CYCLE_1)
	.loc	1 74 25                         ; persistent_matmul.py:74:25
	s_and_saveexec_b32 s25, s17
	s_cbranch_execz .LBB0_443
.LBB0_628:
	.loc	1 68 56                         ; persistent_matmul.py:68:56
	v_lshlrev_b64 v[32:33], 1, v[78:79]
	.loc	1 73 31                         ; persistent_matmul.py:73:31
	v_cvt_f16_f32_e32 v34, v37
	s_delay_alu instid0(VALU_DEP_2) | instskip(NEXT) | instid1(VALU_DEP_1)
	.loc	1 68 56                         ; persistent_matmul.py:68:56
	v_add_co_u32 v32, s17, v54, v32
	v_add_co_ci_u32_e64 v33, null, v55, v33, s17
	.loc	1 74 25                         ; persistent_matmul.py:74:25
	global_store_b16 v[32:33], v34, off
	s_or_b32 exec_lo, exec_lo, s25
	.loc	1 69 43                         ; persistent_matmul.py:69:43
	s_and_b32 s17, s16, s13
	s_delay_alu instid0(SALU_CYCLE_1)
	.loc	1 74 25                         ; persistent_matmul.py:74:25
	s_and_saveexec_b32 s25, s17
	s_cbranch_execz .LBB0_444
.LBB0_629:
	.loc	1 68 56                         ; persistent_matmul.py:68:56
	v_lshlrev_b64 v[32:33], 1, v[52:53]
	.loc	1 73 31                         ; persistent_matmul.py:73:31
	v_cvt_f16_f32_e32 v34, v38
	s_delay_alu instid0(VALU_DEP_2) | instskip(NEXT) | instid1(VALU_DEP_1)
	.loc	1 68 56                         ; persistent_matmul.py:68:56
	v_add_co_u32 v32, s17, v54, v32
	v_add_co_ci_u32_e64 v33, null, v55, v33, s17
	.loc	1 74 25                         ; persistent_matmul.py:74:25
	global_store_b16 v[32:33], v34, off
	s_or_b32 exec_lo, exec_lo, s25
	.loc	1 69 43                         ; persistent_matmul.py:69:43
	s_and_b32 s16, s16, s14
	s_delay_alu instid0(SALU_CYCLE_1)
	.loc	1 74 25                         ; persistent_matmul.py:74:25
	s_and_saveexec_b32 s17, s16
	s_cbranch_execnz .LBB0_445
	s_branch .LBB0_446
.LBB0_630:
	.loc	1 68 56                         ; persistent_matmul.py:68:56
	v_lshlrev_b64 v[34:35], 1, v[64:65]
	.loc	1 73 31                         ; persistent_matmul.py:73:31
	v_cvt_f16_f32_e32 v24, v24
	s_delay_alu instid0(VALU_DEP_2) | instskip(NEXT) | instid1(VALU_DEP_1)
	.loc	1 68 56                         ; persistent_matmul.py:68:56
	v_add_co_u32 v34, s17, v32, v34
	v_add_co_ci_u32_e64 v35, null, v33, v35, s17
	.loc	1 74 25                         ; persistent_matmul.py:74:25
	global_store_b16 v[34:35], v24, off
	s_or_b32 exec_lo, exec_lo, s25
	.loc	1 69 43                         ; persistent_matmul.py:69:43
	s_and_b32 s17, s16, s0
	s_delay_alu instid0(SALU_CYCLE_1)
	.loc	1 74 25                         ; persistent_matmul.py:74:25
	s_and_saveexec_b32 s25, s17
	s_cbranch_execz .LBB0_448
.LBB0_631:
	.loc	1 68 56                         ; persistent_matmul.py:68:56
	v_lshlrev_b64 v[34:35], 1, v[66:67]
	.loc	1 73 31                         ; persistent_matmul.py:73:31
	v_cvt_f16_f32_e32 v24, v25
	s_delay_alu instid0(VALU_DEP_2) | instskip(NEXT) | instid1(VALU_DEP_1)
	.loc	1 68 56                         ; persistent_matmul.py:68:56
	v_add_co_u32 v34, s17, v32, v34
	v_add_co_ci_u32_e64 v35, null, v33, v35, s17
	.loc	1 74 25                         ; persistent_matmul.py:74:25
	global_store_b16 v[34:35], v24, off
	s_or_b32 exec_lo, exec_lo, s25
	.loc	1 69 43                         ; persistent_matmul.py:69:43
	s_and_b32 s17, s16, s1
	s_delay_alu instid0(SALU_CYCLE_1)
	.loc	1 74 25                         ; persistent_matmul.py:74:25
	s_and_saveexec_b32 s25, s17
	s_cbranch_execz .LBB0_449
.LBB0_632:
	.loc	1 68 56                         ; persistent_matmul.py:68:56
	v_lshlrev_b64 v[24:25], 1, v[56:57]
	.loc	1 73 31                         ; persistent_matmul.py:73:31
	v_cvt_f16_f32_e32 v26, v26
	s_delay_alu instid0(VALU_DEP_2) | instskip(NEXT) | instid1(VALU_DEP_1)
	.loc	1 68 56                         ; persistent_matmul.py:68:56
	v_add_co_u32 v24, s17, v32, v24
	v_add_co_ci_u32_e64 v25, null, v33, v25, s17
	.loc	1 74 25                         ; persistent_matmul.py:74:25
	global_store_b16 v[24:25], v26, off
	s_or_b32 exec_lo, exec_lo, s25
	.loc	1 69 43                         ; persistent_matmul.py:69:43
	s_and_b32 s17, s16, s2
	s_delay_alu instid0(SALU_CYCLE_1)
	.loc	1 74 25                         ; persistent_matmul.py:74:25
	s_and_saveexec_b32 s25, s17
	s_cbranch_execz .LBB0_450
.LBB0_633:
	.loc	1 68 56                         ; persistent_matmul.py:68:56
	v_lshlrev_b64 v[24:25], 1, v[68:69]
	.loc	1 73 31                         ; persistent_matmul.py:73:31
	v_cvt_f16_f32_e32 v26, v27
	s_delay_alu instid0(VALU_DEP_2) | instskip(NEXT) | instid1(VALU_DEP_1)
	.loc	1 68 56                         ; persistent_matmul.py:68:56
	v_add_co_u32 v24, s17, v32, v24
	v_add_co_ci_u32_e64 v25, null, v33, v25, s17
	.loc	1 74 25                         ; persistent_matmul.py:74:25
	global_store_b16 v[24:25], v26, off
	s_or_b32 exec_lo, exec_lo, s25
	.loc	1 69 43                         ; persistent_matmul.py:69:43
	s_and_b32 s17, s16, s3
	s_delay_alu instid0(SALU_CYCLE_1)
	.loc	1 74 25                         ; persistent_matmul.py:74:25
	s_and_saveexec_b32 s25, s17
	s_cbranch_execz .LBB0_451
.LBB0_634:
	.loc	1 68 56                         ; persistent_matmul.py:68:56
	v_lshlrev_b64 v[24:25], 1, v[58:59]
	.loc	1 73 31                         ; persistent_matmul.py:73:31
	v_cvt_f16_f32_e32 v26, v28
	s_delay_alu instid0(VALU_DEP_2) | instskip(NEXT) | instid1(VALU_DEP_1)
	.loc	1 68 56                         ; persistent_matmul.py:68:56
	v_add_co_u32 v24, s17, v32, v24
	v_add_co_ci_u32_e64 v25, null, v33, v25, s17
	.loc	1 74 25                         ; persistent_matmul.py:74:25
	global_store_b16 v[24:25], v26, off
	s_or_b32 exec_lo, exec_lo, s25
	.loc	1 69 43                         ; persistent_matmul.py:69:43
	s_and_b32 s17, s16, s4
	s_delay_alu instid0(SALU_CYCLE_1)
	.loc	1 74 25                         ; persistent_matmul.py:74:25
	s_and_saveexec_b32 s25, s17
	s_cbranch_execz .LBB0_452
.LBB0_635:
	.loc	1 68 56                         ; persistent_matmul.py:68:56
	v_lshlrev_b64 v[24:25], 1, v[70:71]
	.loc	1 73 31                         ; persistent_matmul.py:73:31
	v_cvt_f16_f32_e32 v26, v29
	s_delay_alu instid0(VALU_DEP_2) | instskip(NEXT) | instid1(VALU_DEP_1)
	.loc	1 68 56                         ; persistent_matmul.py:68:56
	v_add_co_u32 v24, s17, v32, v24
	v_add_co_ci_u32_e64 v25, null, v33, v25, s17
	.loc	1 74 25                         ; persistent_matmul.py:74:25
	global_store_b16 v[24:25], v26, off
	s_or_b32 exec_lo, exec_lo, s25
	.loc	1 69 43                         ; persistent_matmul.py:69:43
	s_and_b32 s17, s16, s5
	s_delay_alu instid0(SALU_CYCLE_1)
	.loc	1 74 25                         ; persistent_matmul.py:74:25
	s_and_saveexec_b32 s25, s17
	s_cbranch_execz .LBB0_453
.LBB0_636:
	.loc	1 68 56                         ; persistent_matmul.py:68:56
	v_lshlrev_b64 v[24:25], 1, v[60:61]
	.loc	1 73 31                         ; persistent_matmul.py:73:31
	v_cvt_f16_f32_e32 v26, v30
	s_delay_alu instid0(VALU_DEP_2) | instskip(NEXT) | instid1(VALU_DEP_1)
	.loc	1 68 56                         ; persistent_matmul.py:68:56
	v_add_co_u32 v24, s17, v32, v24
	v_add_co_ci_u32_e64 v25, null, v33, v25, s17
	.loc	1 74 25                         ; persistent_matmul.py:74:25
	global_store_b16 v[24:25], v26, off
	s_or_b32 exec_lo, exec_lo, s25
	.loc	1 69 43                         ; persistent_matmul.py:69:43
	s_and_b32 s17, s16, s6
	s_delay_alu instid0(SALU_CYCLE_1)
	.loc	1 74 25                         ; persistent_matmul.py:74:25
	s_and_saveexec_b32 s25, s17
	s_cbranch_execz .LBB0_454
.LBB0_637:
	.loc	1 68 56                         ; persistent_matmul.py:68:56
	v_lshlrev_b64 v[24:25], 1, v[72:73]
	.loc	1 73 31                         ; persistent_matmul.py:73:31
	v_cvt_f16_f32_e32 v26, v31
	s_delay_alu instid0(VALU_DEP_2) | instskip(NEXT) | instid1(VALU_DEP_1)
	.loc	1 68 56                         ; persistent_matmul.py:68:56
	v_add_co_u32 v24, s17, v32, v24
	v_add_co_ci_u32_e64 v25, null, v33, v25, s17
	.loc	1 74 25                         ; persistent_matmul.py:74:25
	global_store_b16 v[24:25], v26, off
	s_or_b32 exec_lo, exec_lo, s25
	.loc	1 69 43                         ; persistent_matmul.py:69:43
	s_and_b32 s17, s16, s7
	s_delay_alu instid0(SALU_CYCLE_1)
	.loc	1 74 25                         ; persistent_matmul.py:74:25
	s_and_saveexec_b32 s25, s17
	s_cbranch_execz .LBB0_455
.LBB0_638:
	.loc	1 68 56                         ; persistent_matmul.py:68:56
	v_lshlrev_b64 v[24:25], 1, v[62:63]
	.loc	1 73 31                         ; persistent_matmul.py:73:31
	v_cvt_f16_f32_e32 v16, v16
	s_delay_alu instid0(VALU_DEP_2) | instskip(NEXT) | instid1(VALU_DEP_1)
	.loc	1 68 56                         ; persistent_matmul.py:68:56
	v_add_co_u32 v24, s17, v32, v24
	v_add_co_ci_u32_e64 v25, null, v33, v25, s17
	.loc	1 74 25                         ; persistent_matmul.py:74:25
	global_store_b16 v[24:25], v16, off
	s_or_b32 exec_lo, exec_lo, s25
	.loc	1 69 43                         ; persistent_matmul.py:69:43
	s_and_b32 s17, s16, s8
	s_delay_alu instid0(SALU_CYCLE_1)
	.loc	1 74 25                         ; persistent_matmul.py:74:25
	s_and_saveexec_b32 s25, s17
	s_cbranch_execz .LBB0_456
.LBB0_639:
	.loc	1 68 56                         ; persistent_matmul.py:68:56
	v_lshlrev_b64 v[24:25], 1, v[74:75]
	.loc	1 73 31                         ; persistent_matmul.py:73:31
	v_cvt_f16_f32_e32 v16, v17
	s_delay_alu instid0(VALU_DEP_2) | instskip(NEXT) | instid1(VALU_DEP_1)
	.loc	1 68 56                         ; persistent_matmul.py:68:56
	v_add_co_u32 v24, s17, v32, v24
	v_add_co_ci_u32_e64 v25, null, v33, v25, s17
	.loc	1 74 25                         ; persistent_matmul.py:74:25
	global_store_b16 v[24:25], v16, off
	s_or_b32 exec_lo, exec_lo, s25
	.loc	1 69 43                         ; persistent_matmul.py:69:43
	s_and_b32 s17, s16, s9
	s_delay_alu instid0(SALU_CYCLE_1)
	.loc	1 74 25                         ; persistent_matmul.py:74:25
	s_and_saveexec_b32 s25, s17
	s_cbranch_execz .LBB0_457
.LBB0_640:
	.loc	1 68 56                         ; persistent_matmul.py:68:56
	v_lshlrev_b64 v[16:17], 1, v[48:49]
	.loc	1 73 31                         ; persistent_matmul.py:73:31
	v_cvt_f16_f32_e32 v18, v18
	s_delay_alu instid0(VALU_DEP_2) | instskip(NEXT) | instid1(VALU_DEP_1)
	.loc	1 68 56                         ; persistent_matmul.py:68:56
	v_add_co_u32 v16, s17, v32, v16
	v_add_co_ci_u32_e64 v17, null, v33, v17, s17
	.loc	1 74 25                         ; persistent_matmul.py:74:25
	global_store_b16 v[16:17], v18, off
	s_or_b32 exec_lo, exec_lo, s25
	.loc	1 69 43                         ; persistent_matmul.py:69:43
	s_and_b32 s17, s16, s10
	s_delay_alu instid0(SALU_CYCLE_1)
	.loc	1 74 25                         ; persistent_matmul.py:74:25
	s_and_saveexec_b32 s25, s17
	s_cbranch_execz .LBB0_458
.LBB0_641:
	.loc	1 68 56                         ; persistent_matmul.py:68:56
	v_lshlrev_b64 v[16:17], 1, v[76:77]
	.loc	1 73 31                         ; persistent_matmul.py:73:31
	v_cvt_f16_f32_e32 v18, v19
	s_delay_alu instid0(VALU_DEP_2) | instskip(NEXT) | instid1(VALU_DEP_1)
	.loc	1 68 56                         ; persistent_matmul.py:68:56
	v_add_co_u32 v16, s17, v32, v16
	v_add_co_ci_u32_e64 v17, null, v33, v17, s17
	.loc	1 74 25                         ; persistent_matmul.py:74:25
	global_store_b16 v[16:17], v18, off
	s_or_b32 exec_lo, exec_lo, s25
	.loc	1 69 43                         ; persistent_matmul.py:69:43
	s_and_b32 s17, s16, s11
	s_delay_alu instid0(SALU_CYCLE_1)
	.loc	1 74 25                         ; persistent_matmul.py:74:25
	s_and_saveexec_b32 s25, s17
	s_cbranch_execz .LBB0_459
.LBB0_642:
	.loc	1 68 56                         ; persistent_matmul.py:68:56
	v_lshlrev_b64 v[16:17], 1, v[50:51]
	.loc	1 73 31                         ; persistent_matmul.py:73:31
	v_cvt_f16_f32_e32 v18, v20
	s_delay_alu instid0(VALU_DEP_2) | instskip(NEXT) | instid1(VALU_DEP_1)
	.loc	1 68 56                         ; persistent_matmul.py:68:56
	v_add_co_u32 v16, s17, v32, v16
	v_add_co_ci_u32_e64 v17, null, v33, v17, s17
	.loc	1 74 25                         ; persistent_matmul.py:74:25
	global_store_b16 v[16:17], v18, off
	s_or_b32 exec_lo, exec_lo, s25
	.loc	1 69 43                         ; persistent_matmul.py:69:43
	s_and_b32 s17, s16, s12
	s_delay_alu instid0(SALU_CYCLE_1)
	.loc	1 74 25                         ; persistent_matmul.py:74:25
	s_and_saveexec_b32 s25, s17
	s_cbranch_execz .LBB0_460
.LBB0_643:
	.loc	1 68 56                         ; persistent_matmul.py:68:56
	v_lshlrev_b64 v[16:17], 1, v[78:79]
	.loc	1 73 31                         ; persistent_matmul.py:73:31
	v_cvt_f16_f32_e32 v18, v21
	s_delay_alu instid0(VALU_DEP_2) | instskip(NEXT) | instid1(VALU_DEP_1)
	.loc	1 68 56                         ; persistent_matmul.py:68:56
	v_add_co_u32 v16, s17, v32, v16
	v_add_co_ci_u32_e64 v17, null, v33, v17, s17
	.loc	1 74 25                         ; persistent_matmul.py:74:25
	global_store_b16 v[16:17], v18, off
	s_or_b32 exec_lo, exec_lo, s25
	.loc	1 69 43                         ; persistent_matmul.py:69:43
	s_and_b32 s17, s16, s13
	s_delay_alu instid0(SALU_CYCLE_1)
	.loc	1 74 25                         ; persistent_matmul.py:74:25
	s_and_saveexec_b32 s25, s17
	s_cbranch_execz .LBB0_461
.LBB0_644:
	.loc	1 68 56                         ; persistent_matmul.py:68:56
	v_lshlrev_b64 v[16:17], 1, v[52:53]
	.loc	1 73 31                         ; persistent_matmul.py:73:31
	v_cvt_f16_f32_e32 v18, v22
	s_delay_alu instid0(VALU_DEP_2) | instskip(NEXT) | instid1(VALU_DEP_1)
	.loc	1 68 56                         ; persistent_matmul.py:68:56
	v_add_co_u32 v16, s17, v32, v16
	v_add_co_ci_u32_e64 v17, null, v33, v17, s17
	.loc	1 74 25                         ; persistent_matmul.py:74:25
	global_store_b16 v[16:17], v18, off
	s_or_b32 exec_lo, exec_lo, s25
	.loc	1 69 43                         ; persistent_matmul.py:69:43
	s_and_b32 s16, s16, s14
	s_delay_alu instid0(SALU_CYCLE_1)
	.loc	1 74 25                         ; persistent_matmul.py:74:25
	s_and_saveexec_b32 s17, s16
	s_cbranch_execnz .LBB0_462
	s_branch .LBB0_463
.LBB0_645:
	.loc	1 68 56                         ; persistent_matmul.py:68:56
	v_lshlrev_b64 v[18:19], 1, v[64:65]
	.loc	1 73 31                         ; persistent_matmul.py:73:31
	v_cvt_f16_f32_e32 v8, v8
	s_delay_alu instid0(VALU_DEP_2) | instskip(NEXT) | instid1(VALU_DEP_1)
	.loc	1 68 56                         ; persistent_matmul.py:68:56
	v_add_co_u32 v18, vcc_lo, v16, v18
	v_add_co_ci_u32_e64 v19, null, v17, v19, vcc_lo
	.loc	1 74 25                         ; persistent_matmul.py:74:25
	global_store_b16 v[18:19], v8, off
	s_or_b32 exec_lo, exec_lo, s17
	.loc	1 69 43                         ; persistent_matmul.py:69:43
	s_and_b32 s17, s16, s0
	s_delay_alu instid0(SALU_CYCLE_1)
	.loc	1 74 25                         ; persistent_matmul.py:74:25
	s_and_saveexec_b32 s0, s17
	s_cbranch_execz .LBB0_465
.LBB0_646:
	.loc	1 68 56                         ; persistent_matmul.py:68:56
	v_lshlrev_b64 v[18:19], 1, v[66:67]
	.loc	1 73 31                         ; persistent_matmul.py:73:31
	v_cvt_f16_f32_e32 v8, v9
	s_delay_alu instid0(VALU_DEP_2) | instskip(NEXT) | instid1(VALU_DEP_1)
	.loc	1 68 56                         ; persistent_matmul.py:68:56
	v_add_co_u32 v18, vcc_lo, v16, v18
	v_add_co_ci_u32_e64 v19, null, v17, v19, vcc_lo
	.loc	1 74 25                         ; persistent_matmul.py:74:25
	global_store_b16 v[18:19], v8, off
	s_or_b32 exec_lo, exec_lo, s0
	.loc	1 69 43                         ; persistent_matmul.py:69:43
	s_and_b32 s1, s16, s1
	s_delay_alu instid0(SALU_CYCLE_1)
	.loc	1 74 25                         ; persistent_matmul.py:74:25
	s_and_saveexec_b32 s0, s1
	s_cbranch_execz .LBB0_466
.LBB0_647:
	.loc	1 68 56                         ; persistent_matmul.py:68:56
	v_lshlrev_b64 v[8:9], 1, v[56:57]
	.loc	1 73 31                         ; persistent_matmul.py:73:31
	v_cvt_f16_f32_e32 v10, v10
	s_delay_alu instid0(VALU_DEP_2) | instskip(NEXT) | instid1(VALU_DEP_1)
	.loc	1 68 56                         ; persistent_matmul.py:68:56
	v_add_co_u32 v8, vcc_lo, v16, v8
	v_add_co_ci_u32_e64 v9, null, v17, v9, vcc_lo
	.loc	1 74 25                         ; persistent_matmul.py:74:25
	global_store_b16 v[8:9], v10, off
	s_or_b32 exec_lo, exec_lo, s0
	.loc	1 69 43                         ; persistent_matmul.py:69:43
	s_and_b32 s1, s16, s2
	s_delay_alu instid0(SALU_CYCLE_1)
	.loc	1 74 25                         ; persistent_matmul.py:74:25
	s_and_saveexec_b32 s0, s1
	s_cbranch_execz .LBB0_467
.LBB0_648:
	.loc	1 68 56                         ; persistent_matmul.py:68:56
	v_lshlrev_b64 v[8:9], 1, v[68:69]
	.loc	1 73 31                         ; persistent_matmul.py:73:31
	v_cvt_f16_f32_e32 v10, v11
	s_delay_alu instid0(VALU_DEP_2) | instskip(NEXT) | instid1(VALU_DEP_1)
	.loc	1 68 56                         ; persistent_matmul.py:68:56
	v_add_co_u32 v8, vcc_lo, v16, v8
	v_add_co_ci_u32_e64 v9, null, v17, v9, vcc_lo
	.loc	1 74 25                         ; persistent_matmul.py:74:25
	global_store_b16 v[8:9], v10, off
	s_or_b32 exec_lo, exec_lo, s0
	.loc	1 69 43                         ; persistent_matmul.py:69:43
	s_and_b32 s1, s16, s3
	s_delay_alu instid0(SALU_CYCLE_1)
	.loc	1 74 25                         ; persistent_matmul.py:74:25
	s_and_saveexec_b32 s0, s1
	s_cbranch_execz .LBB0_468
.LBB0_649:
	.loc	1 68 56                         ; persistent_matmul.py:68:56
	v_lshlrev_b64 v[8:9], 1, v[58:59]
	.loc	1 73 31                         ; persistent_matmul.py:73:31
	v_cvt_f16_f32_e32 v10, v12
	s_delay_alu instid0(VALU_DEP_2) | instskip(NEXT) | instid1(VALU_DEP_1)
	.loc	1 68 56                         ; persistent_matmul.py:68:56
	v_add_co_u32 v8, vcc_lo, v16, v8
	v_add_co_ci_u32_e64 v9, null, v17, v9, vcc_lo
	.loc	1 74 25                         ; persistent_matmul.py:74:25
	global_store_b16 v[8:9], v10, off
	s_or_b32 exec_lo, exec_lo, s0
	.loc	1 69 43                         ; persistent_matmul.py:69:43
	s_and_b32 s1, s16, s4
	s_delay_alu instid0(SALU_CYCLE_1)
	.loc	1 74 25                         ; persistent_matmul.py:74:25
	s_and_saveexec_b32 s0, s1
	s_cbranch_execz .LBB0_469
.LBB0_650:
	.loc	1 68 56                         ; persistent_matmul.py:68:56
	v_lshlrev_b64 v[8:9], 1, v[70:71]
	.loc	1 73 31                         ; persistent_matmul.py:73:31
	v_cvt_f16_f32_e32 v10, v13
	s_delay_alu instid0(VALU_DEP_2) | instskip(NEXT) | instid1(VALU_DEP_1)
	.loc	1 68 56                         ; persistent_matmul.py:68:56
	v_add_co_u32 v8, vcc_lo, v16, v8
	v_add_co_ci_u32_e64 v9, null, v17, v9, vcc_lo
	.loc	1 74 25                         ; persistent_matmul.py:74:25
	global_store_b16 v[8:9], v10, off
	s_or_b32 exec_lo, exec_lo, s0
	.loc	1 69 43                         ; persistent_matmul.py:69:43
	s_and_b32 s1, s16, s5
	s_delay_alu instid0(SALU_CYCLE_1)
	.loc	1 74 25                         ; persistent_matmul.py:74:25
	s_and_saveexec_b32 s0, s1
	s_cbranch_execz .LBB0_470
.LBB0_651:
	.loc	1 68 56                         ; persistent_matmul.py:68:56
	v_lshlrev_b64 v[8:9], 1, v[60:61]
	.loc	1 73 31                         ; persistent_matmul.py:73:31
	v_cvt_f16_f32_e32 v10, v14
	s_delay_alu instid0(VALU_DEP_2) | instskip(NEXT) | instid1(VALU_DEP_1)
	.loc	1 68 56                         ; persistent_matmul.py:68:56
	v_add_co_u32 v8, vcc_lo, v16, v8
	v_add_co_ci_u32_e64 v9, null, v17, v9, vcc_lo
	.loc	1 74 25                         ; persistent_matmul.py:74:25
	global_store_b16 v[8:9], v10, off
	s_or_b32 exec_lo, exec_lo, s0
	.loc	1 69 43                         ; persistent_matmul.py:69:43
	s_and_b32 s1, s16, s6
	s_delay_alu instid0(SALU_CYCLE_1)
	.loc	1 74 25                         ; persistent_matmul.py:74:25
	s_and_saveexec_b32 s0, s1
	s_cbranch_execz .LBB0_471
.LBB0_652:
	.loc	1 68 56                         ; persistent_matmul.py:68:56
	v_lshlrev_b64 v[8:9], 1, v[72:73]
	.loc	1 73 31                         ; persistent_matmul.py:73:31
	v_cvt_f16_f32_e32 v10, v15
	s_delay_alu instid0(VALU_DEP_2) | instskip(NEXT) | instid1(VALU_DEP_1)
	.loc	1 68 56                         ; persistent_matmul.py:68:56
	v_add_co_u32 v8, vcc_lo, v16, v8
	v_add_co_ci_u32_e64 v9, null, v17, v9, vcc_lo
	.loc	1 74 25                         ; persistent_matmul.py:74:25
	global_store_b16 v[8:9], v10, off
	s_or_b32 exec_lo, exec_lo, s0
	.loc	1 69 43                         ; persistent_matmul.py:69:43
	s_and_b32 s1, s16, s7
	s_delay_alu instid0(SALU_CYCLE_1)
	.loc	1 74 25                         ; persistent_matmul.py:74:25
	s_and_saveexec_b32 s0, s1
	s_cbranch_execz .LBB0_472
.LBB0_653:
	.loc	1 68 56                         ; persistent_matmul.py:68:56
	v_lshlrev_b64 v[8:9], 1, v[62:63]
	.loc	1 73 31                         ; persistent_matmul.py:73:31
	v_cvt_f16_f32_e32 v0, v0
	s_delay_alu instid0(VALU_DEP_2) | instskip(NEXT) | instid1(VALU_DEP_1)
	.loc	1 68 56                         ; persistent_matmul.py:68:56
	v_add_co_u32 v8, vcc_lo, v16, v8
	v_add_co_ci_u32_e64 v9, null, v17, v9, vcc_lo
	.loc	1 74 25                         ; persistent_matmul.py:74:25
	global_store_b16 v[8:9], v0, off
	s_or_b32 exec_lo, exec_lo, s0
	.loc	1 69 43                         ; persistent_matmul.py:69:43
	s_and_b32 s1, s16, s8
	s_delay_alu instid0(SALU_CYCLE_1)
	.loc	1 74 25                         ; persistent_matmul.py:74:25
	s_and_saveexec_b32 s0, s1
	s_cbranch_execz .LBB0_473
.LBB0_654:
	.loc	1 68 56                         ; persistent_matmul.py:68:56
	v_lshlrev_b64 v[8:9], 1, v[74:75]
	.loc	1 73 31                         ; persistent_matmul.py:73:31
	v_cvt_f16_f32_e32 v0, v1
	s_delay_alu instid0(VALU_DEP_2) | instskip(NEXT) | instid1(VALU_DEP_1)
	.loc	1 68 56                         ; persistent_matmul.py:68:56
	v_add_co_u32 v8, vcc_lo, v16, v8
	v_add_co_ci_u32_e64 v9, null, v17, v9, vcc_lo
	.loc	1 74 25                         ; persistent_matmul.py:74:25
	global_store_b16 v[8:9], v0, off
	s_or_b32 exec_lo, exec_lo, s0
	.loc	1 69 43                         ; persistent_matmul.py:69:43
	s_and_b32 s1, s16, s9
	s_delay_alu instid0(SALU_CYCLE_1)
	.loc	1 74 25                         ; persistent_matmul.py:74:25
	s_and_saveexec_b32 s0, s1
	s_cbranch_execz .LBB0_474
.LBB0_655:
	.loc	1 68 56                         ; persistent_matmul.py:68:56
	v_lshlrev_b64 v[0:1], 1, v[48:49]
	.loc	1 73 31                         ; persistent_matmul.py:73:31
	v_cvt_f16_f32_e32 v2, v2
	s_delay_alu instid0(VALU_DEP_2) | instskip(NEXT) | instid1(VALU_DEP_1)
	.loc	1 68 56                         ; persistent_matmul.py:68:56
	v_add_co_u32 v0, vcc_lo, v16, v0
	v_add_co_ci_u32_e64 v1, null, v17, v1, vcc_lo
	.loc	1 74 25                         ; persistent_matmul.py:74:25
	global_store_b16 v[0:1], v2, off
	s_or_b32 exec_lo, exec_lo, s0
	.loc	1 69 43                         ; persistent_matmul.py:69:43
	s_and_b32 s1, s16, s10
	s_delay_alu instid0(SALU_CYCLE_1)
	.loc	1 74 25                         ; persistent_matmul.py:74:25
	s_and_saveexec_b32 s0, s1
	s_cbranch_execz .LBB0_475
.LBB0_656:
	.loc	1 68 56                         ; persistent_matmul.py:68:56
	v_lshlrev_b64 v[0:1], 1, v[76:77]
	.loc	1 73 31                         ; persistent_matmul.py:73:31
	v_cvt_f16_f32_e32 v2, v3
	s_delay_alu instid0(VALU_DEP_2) | instskip(NEXT) | instid1(VALU_DEP_1)
	.loc	1 68 56                         ; persistent_matmul.py:68:56
	v_add_co_u32 v0, vcc_lo, v16, v0
	v_add_co_ci_u32_e64 v1, null, v17, v1, vcc_lo
	.loc	1 74 25                         ; persistent_matmul.py:74:25
	global_store_b16 v[0:1], v2, off
	s_or_b32 exec_lo, exec_lo, s0
	.loc	1 69 43                         ; persistent_matmul.py:69:43
	s_and_b32 s1, s16, s11
	s_delay_alu instid0(SALU_CYCLE_1)
	.loc	1 74 25                         ; persistent_matmul.py:74:25
	s_and_saveexec_b32 s0, s1
	s_cbranch_execz .LBB0_476
.LBB0_657:
	.loc	1 68 56                         ; persistent_matmul.py:68:56
	v_lshlrev_b64 v[0:1], 1, v[50:51]
	.loc	1 73 31                         ; persistent_matmul.py:73:31
	v_cvt_f16_f32_e32 v2, v4
	s_delay_alu instid0(VALU_DEP_2) | instskip(NEXT) | instid1(VALU_DEP_1)
	.loc	1 68 56                         ; persistent_matmul.py:68:56
	v_add_co_u32 v0, vcc_lo, v16, v0
	v_add_co_ci_u32_e64 v1, null, v17, v1, vcc_lo
	.loc	1 74 25                         ; persistent_matmul.py:74:25
	global_store_b16 v[0:1], v2, off
	s_or_b32 exec_lo, exec_lo, s0
	.loc	1 69 43                         ; persistent_matmul.py:69:43
	s_and_b32 s1, s16, s12
	s_delay_alu instid0(SALU_CYCLE_1)
	.loc	1 74 25                         ; persistent_matmul.py:74:25
	s_and_saveexec_b32 s0, s1
	s_cbranch_execz .LBB0_477
.LBB0_658:
	.loc	1 68 56                         ; persistent_matmul.py:68:56
	v_lshlrev_b64 v[0:1], 1, v[78:79]
	.loc	1 73 31                         ; persistent_matmul.py:73:31
	v_cvt_f16_f32_e32 v2, v5
	s_delay_alu instid0(VALU_DEP_2) | instskip(NEXT) | instid1(VALU_DEP_1)
	.loc	1 68 56                         ; persistent_matmul.py:68:56
	v_add_co_u32 v0, vcc_lo, v16, v0
	v_add_co_ci_u32_e64 v1, null, v17, v1, vcc_lo
	.loc	1 74 25                         ; persistent_matmul.py:74:25
	global_store_b16 v[0:1], v2, off
	s_or_b32 exec_lo, exec_lo, s0
	.loc	1 69 43                         ; persistent_matmul.py:69:43
	s_and_b32 s1, s16, s13
	s_delay_alu instid0(SALU_CYCLE_1)
	.loc	1 74 25                         ; persistent_matmul.py:74:25
	s_and_saveexec_b32 s0, s1
	s_cbranch_execz .LBB0_478
.LBB0_659:
	.loc	1 68 56                         ; persistent_matmul.py:68:56
	v_lshlrev_b64 v[0:1], 1, v[52:53]
	.loc	1 73 31                         ; persistent_matmul.py:73:31
	v_cvt_f16_f32_e32 v2, v6
	s_delay_alu instid0(VALU_DEP_2) | instskip(NEXT) | instid1(VALU_DEP_1)
	.loc	1 68 56                         ; persistent_matmul.py:68:56
	v_add_co_u32 v0, vcc_lo, v16, v0
	v_add_co_ci_u32_e64 v1, null, v17, v1, vcc_lo
	.loc	1 74 25                         ; persistent_matmul.py:74:25
	global_store_b16 v[0:1], v2, off
	s_or_b32 exec_lo, exec_lo, s0
	.loc	1 69 43                         ; persistent_matmul.py:69:43
	s_and_b32 s1, s16, s14
	s_delay_alu instid0(SALU_CYCLE_1)
	.loc	1 74 25                         ; persistent_matmul.py:74:25
	s_and_saveexec_b32 s0, s1
	s_cbranch_execnz .LBB0_479
	s_branch .LBB0_480
.Ltmp67:
	.section	.rodata,"a",@progbits
	.p2align	6, 0x0
	.amdhsa_kernel matmul_kernel_persistent
		.amdhsa_group_segment_fixed_size 0
		.amdhsa_private_segment_fixed_size 704
		.amdhsa_kernarg_size 80
		.amdhsa_user_sgpr_count 15
		.amdhsa_user_sgpr_dispatch_ptr 0
		.amdhsa_user_sgpr_queue_ptr 0
		.amdhsa_user_sgpr_kernarg_segment_ptr 1
		.amdhsa_user_sgpr_dispatch_id 0
		.amdhsa_user_sgpr_private_segment_size 0
		.amdhsa_wavefront_size32 1
		.amdhsa_uses_dynamic_stack 0
		.amdhsa_enable_private_segment 1
		.amdhsa_system_sgpr_workgroup_id_x 1
		.amdhsa_system_sgpr_workgroup_id_y 0
		.amdhsa_system_sgpr_workgroup_id_z 0
		.amdhsa_system_sgpr_workgroup_info 0
		.amdhsa_system_vgpr_workitem_id 0
		.amdhsa_next_free_vgpr 256
		.amdhsa_next_free_sgpr 50
		.amdhsa_reserve_vcc 1
		.amdhsa_float_round_mode_32 0
		.amdhsa_float_round_mode_16_64 0
		.amdhsa_float_denorm_mode_32 3
		.amdhsa_float_denorm_mode_16_64 3
		.amdhsa_dx10_clamp 1
		.amdhsa_ieee_mode 1
		.amdhsa_fp16_overflow 0
		.amdhsa_workgroup_processor_mode 1
		.amdhsa_memory_ordered 1
		.amdhsa_forward_progress 1
		.amdhsa_shared_vgpr_count 0
		.amdhsa_inst_pref_size 63
		.amdhsa_exception_fp_ieee_invalid_op 0
		.amdhsa_exception_fp_denorm_src 0
		.amdhsa_exception_fp_ieee_div_zero 0
		.amdhsa_exception_fp_ieee_overflow 0
		.amdhsa_exception_fp_ieee_underflow 0
		.amdhsa_exception_fp_ieee_inexact 0
		.amdhsa_exception_int_div_zero 0
	.end_amdhsa_kernel
	.text
.Lfunc_end0:
	.size	matmul_kernel_persistent, .Lfunc_end0-matmul_kernel_persistent
	.cfi_endproc
                                        ; -- End function
	.set matmul_kernel_persistent.num_vgpr, 256
	.set matmul_kernel_persistent.num_agpr, 0
	.set matmul_kernel_persistent.numbered_sgpr, 50
	.set matmul_kernel_persistent.num_named_barrier, 0
	.set matmul_kernel_persistent.private_seg_size, 704
	.set matmul_kernel_persistent.uses_vcc, 1
	.set matmul_kernel_persistent.uses_flat_scratch, 1
	.set matmul_kernel_persistent.has_dyn_sized_stack, 0
	.set matmul_kernel_persistent.has_recursion, 0
	.set matmul_kernel_persistent.has_indirect_call, 0
	.section	.AMDGPU.csdata,"",@progbits
; Kernel info:
; codeLenInByte = 40248
; TotalNumSgprs: 52
; NumVgprs: 256
; ScratchSize: 704
; MemoryBound: 0
; FloatMode: 240
; IeeeMode: 1
; LDSByteSize: 0 bytes/workgroup (compile time only)
; SGPRBlocks: 0
; VGPRBlocks: 31
; NumSGPRsForWavesPerEU: 52
; NumVGPRsForWavesPerEU: 256
; Occupancy: 5
; WaveLimiterHint : 0
; COMPUTE_PGM_RSRC2:SCRATCH_EN: 1
; COMPUTE_PGM_RSRC2:USER_SGPR: 15
; COMPUTE_PGM_RSRC2:TRAP_HANDLER: 0
; COMPUTE_PGM_RSRC2:TGID_X_EN: 1
; COMPUTE_PGM_RSRC2:TGID_Y_EN: 0
; COMPUTE_PGM_RSRC2:TGID_Z_EN: 0
; COMPUTE_PGM_RSRC2:TIDIG_COMP_CNT: 0
	.text
	.p2alignl 7, 3214868480
	.fill 96, 4, 3214868480
	.section	.AMDGPU.gpr_maximums,"",@progbits
	.set amdgpu.max_num_vgpr, 0
	.set amdgpu.max_num_agpr, 0
	.set amdgpu.max_num_sgpr, 0
	.set amdgpu.max_num_named_barrier, 0
	.text
	.section	.debug_abbrev,"",@progbits
	.byte	1                               ; Abbreviation Code
	.byte	17                              ; DW_TAG_compile_unit
	.byte	1                               ; DW_CHILDREN_yes
	.byte	37                              ; DW_AT_producer
	.byte	14                              ; DW_FORM_strp
	.byte	19                              ; DW_AT_language
	.byte	5                               ; DW_FORM_data2
	.byte	3                               ; DW_AT_name
	.byte	14                              ; DW_FORM_strp
	.byte	16                              ; DW_AT_stmt_list
	.byte	23                              ; DW_FORM_sec_offset
	.byte	27                              ; DW_AT_comp_dir
	.byte	14                              ; DW_FORM_strp
	.byte	17                              ; DW_AT_low_pc
	.byte	1                               ; DW_FORM_addr
	.byte	18                              ; DW_AT_high_pc
	.byte	6                               ; DW_FORM_data4
	.byte	0                               ; EOM(1)
	.byte	0                               ; EOM(2)
	.byte	2                               ; Abbreviation Code
	.byte	46                              ; DW_TAG_subprogram
	.byte	0                               ; DW_CHILDREN_no
	.byte	3                               ; DW_AT_name
	.byte	14                              ; DW_FORM_strp
	.byte	32                              ; DW_AT_inline
	.byte	11                              ; DW_FORM_data1
	.byte	0                               ; EOM(1)
	.byte	0                               ; EOM(2)
	.byte	3                               ; Abbreviation Code
	.byte	46                              ; DW_TAG_subprogram
	.byte	1                               ; DW_CHILDREN_yes
	.byte	17                              ; DW_AT_low_pc
	.byte	1                               ; DW_FORM_addr
	.byte	18                              ; DW_AT_high_pc
	.byte	6                               ; DW_FORM_data4
	.byte	49                              ; DW_AT_abstract_origin
	.byte	19                              ; DW_FORM_ref4
	.byte	0                               ; EOM(1)
	.byte	0                               ; EOM(2)
	.byte	4                               ; Abbreviation Code
	.byte	29                              ; DW_TAG_inlined_subroutine
	.byte	0                               ; DW_CHILDREN_no
	.byte	49                              ; DW_AT_abstract_origin
	.byte	19                              ; DW_FORM_ref4
	.byte	85                              ; DW_AT_ranges
	.byte	23                              ; DW_FORM_sec_offset
	.byte	88                              ; DW_AT_call_file
	.byte	11                              ; DW_FORM_data1
	.byte	89                              ; DW_AT_call_line
	.byte	11                              ; DW_FORM_data1
	.byte	87                              ; DW_AT_call_column
	.byte	11                              ; DW_FORM_data1
	.byte	0                               ; EOM(1)
	.byte	0                               ; EOM(2)
	;; [unrolled: 1-line block ×3, first 2 shown]
	.section	.debug_info,"",@progbits
.Lcu_begin0:
	.long	.Ldebug_info_end0-.Ldebug_info_start0 ; Length of Unit
.Ldebug_info_start0:
	.short	4                               ; DWARF version number
	.long	.debug_abbrev                   ; Offset Into Abbrev. Section
	.byte	8                               ; Address Size (in bytes)
	.byte	1                               ; Abbrev [1] 0xb:0x74 DW_TAG_compile_unit
	.long	.Linfo_string0                  ; DW_AT_producer
	.short	2                               ; DW_AT_language
	.long	.Linfo_string1                  ; DW_AT_name
	.long	.Lline_table_start0             ; DW_AT_stmt_list
	.long	.Linfo_string2                  ; DW_AT_comp_dir
	.quad	.Lfunc_begin0                   ; DW_AT_low_pc
	.long	.Lfunc_end0-.Lfunc_begin0       ; DW_AT_high_pc
	.byte	2                               ; Abbrev [2] 0x2a:0x6 DW_TAG_subprogram
	.long	.Linfo_string3                  ; DW_AT_name
	.byte	1                               ; DW_AT_inline
	.byte	3                               ; Abbrev [3] 0x30:0x4e DW_TAG_subprogram
	.quad	.Lfunc_begin0                   ; DW_AT_low_pc
	.long	.Lfunc_end0-.Lfunc_begin0       ; DW_AT_high_pc
	.long	42                              ; DW_AT_abstract_origin
	.byte	4                               ; Abbrev [4] 0x41:0xc DW_TAG_inlined_subroutine
	.long	42                              ; DW_AT_abstract_origin
	.long	.Ldebug_ranges0                 ; DW_AT_ranges
	.byte	1                               ; DW_AT_call_file
	.byte	31                              ; DW_AT_call_line
	.byte	27                              ; DW_AT_call_column
	.byte	4                               ; Abbrev [4] 0x4d:0xc DW_TAG_inlined_subroutine
	.long	42                              ; DW_AT_abstract_origin
	.long	.Ldebug_ranges1                 ; DW_AT_ranges
	.byte	1                               ; DW_AT_call_file
	.byte	32                              ; DW_AT_call_line
	.byte	27                              ; DW_AT_call_column
	;; [unrolled: 6-line block ×5, first 2 shown]
	.byte	0                               ; End Of Children Mark
	.byte	0                               ; End Of Children Mark
.Ldebug_info_end0:
	.section	.debug_ranges,"",@progbits
.Ldebug_ranges0:
	.quad	.Ltmp0-.Lfunc_begin0
	.quad	.Ltmp1-.Lfunc_begin0
	.quad	.Ltmp2-.Lfunc_begin0
	.quad	.Ltmp3-.Lfunc_begin0
	.quad	.Ltmp5-.Lfunc_begin0
	.quad	.Ltmp6-.Lfunc_begin0
	.quad	.Ltmp7-.Lfunc_begin0
	.quad	.Ltmp8-.Lfunc_begin0
	.quad	.Ltmp10-.Lfunc_begin0
	.quad	.Ltmp11-.Lfunc_begin0
	.quad	0
	.quad	0
.Ldebug_ranges1:
	.quad	.Ltmp1-.Lfunc_begin0
	.quad	.Ltmp2-.Lfunc_begin0
	;; [unrolled: 1-line block ×10, first 2 shown]
	.quad	0
	.quad	0
.Ldebug_ranges2:
	.quad	.Ltmp13-.Lfunc_begin0
	.quad	.Ltmp14-.Lfunc_begin0
	;; [unrolled: 1-line block ×10, first 2 shown]
	.quad	0
	.quad	0
.Ldebug_ranges3:
	.quad	.Ltmp23-.Lfunc_begin0
	.quad	.Ltmp24-.Lfunc_begin0
	;; [unrolled: 1-line block ×24, first 2 shown]
	.quad	0
	.quad	0
.Ldebug_ranges4:
	.quad	.Ltmp47-.Lfunc_begin0
	.quad	.Ltmp48-.Lfunc_begin0
	;; [unrolled: 1-line block ×20, first 2 shown]
	.quad	0
	.quad	0
	.section	.debug_str,"MS",@progbits,1
.Linfo_string0:
	.asciz	"triton"                        ; string offset=0
.Linfo_string1:
	.asciz	"persistent_matmul.py"          ; string offset=7
.Linfo_string2:
	.asciz	"/root/src/amdgpu-assembly/repos/triton-lang__triton-aot" ; string offset=28
.Linfo_string3:
	.asciz	"matmul_kernel_persistent"      ; string offset=84
	.section	".note.GNU-stack","",@progbits
	.amdgpu_metadata
---
amdhsa.kernels:
  - .args:
      - .address_space:  global
        .offset:         0
        .size:           8
        .value_kind:     global_buffer
      - .address_space:  global
        .offset:         8
        .size:           8
        .value_kind:     global_buffer
      - .address_space:  global
        .offset:         16
        .size:           8
        .value_kind:     global_buffer
      - .offset:         24
        .size:           4
        .value_kind:     by_value
      - .offset:         28
        .size:           4
        .value_kind:     by_value
      - .offset:         32
        .size:           4
        .value_kind:     by_value
      - .offset:         36
        .size:           4
        .value_kind:     by_value
      - .offset:         40
        .size:           4
        .value_kind:     by_value
      - .offset:         44
        .size:           4
        .value_kind:     by_value
      - .offset:         48
        .size:           4
        .value_kind:     by_value
      - .offset:         52
        .size:           4
        .value_kind:     by_value
      - .offset:         56
        .size:           4
        .value_kind:     by_value
      - .address_space:  global
        .offset:         64
        .size:           8
        .value_kind:     global_buffer
      - .address_space:  global
        .offset:         72
        .size:           8
        .value_kind:     global_buffer
    .group_segment_fixed_size: 0
    .kernarg_segment_align: 8
    .kernarg_segment_size: 80
    .max_flat_workgroup_size: 256
    .name:           matmul_kernel_persistent
    .private_segment_fixed_size: 704
    .sgpr_count:     52
    .sgpr_spill_count: 0
    .symbol:         matmul_kernel_persistent.kd
    .uniform_work_group_size: 1
    .uses_dynamic_stack: false
    .vgpr_count:     256
    .vgpr_spill_count: 245
    .wavefront_size: 32
    .workgroup_processor_mode: 1
amdhsa.target:   amdgcn-amd-amdhsa--gfx1100
amdhsa.version:
  - 1
  - 2
...

	.end_amdgpu_metadata
	.section	.debug_line,"",@progbits
.Lline_table_start0:
